;; amdgpu-corpus repo=ROCm/rocFFT kind=compiled arch=gfx1201 opt=O3
	.text
	.amdgcn_target "amdgcn-amd-amdhsa--gfx1201"
	.amdhsa_code_object_version 6
	.protected	bluestein_single_fwd_len459_dim1_dp_op_CI_CI ; -- Begin function bluestein_single_fwd_len459_dim1_dp_op_CI_CI
	.globl	bluestein_single_fwd_len459_dim1_dp_op_CI_CI
	.p2align	8
	.type	bluestein_single_fwd_len459_dim1_dp_op_CI_CI,@function
bluestein_single_fwd_len459_dim1_dp_op_CI_CI: ; @bluestein_single_fwd_len459_dim1_dp_op_CI_CI
; %bb.0:
	s_load_b128 s[8:11], s[0:1], 0x28
	v_mul_u32_u24_e32 v1, 0x506, v0
	s_mov_b32 s2, exec_lo
	s_delay_alu instid0(VALU_DEP_1) | instskip(NEXT) | instid1(VALU_DEP_1)
	v_lshrrev_b32_e32 v1, 16, v1
	v_mad_co_u64_u32 v[3:4], null, ttmp9, 5, v[1:2]
	v_mov_b32_e32 v4, 0
                                        ; kill: def $vgpr2 killed $sgpr0 killed $exec
	s_wait_kmcnt 0x0
	s_delay_alu instid0(VALU_DEP_1)
	v_cmpx_gt_u64_e64 s[8:9], v[3:4]
	s_cbranch_execz .LBB0_15
; %bb.1:
	v_mul_hi_u32 v2, 0xcccccccd, v3
	v_mul_lo_u16 v1, v1, 51
	s_clause 0x1
	s_load_b64 s[8:9], s[0:1], 0x0
	s_load_b64 s[12:13], s[0:1], 0x38
	s_delay_alu instid0(VALU_DEP_1) | instskip(SKIP_1) | instid1(VALU_DEP_4)
	v_sub_nc_u16 v0, v0, v1
	v_mov_b32_e32 v1, v3
	v_lshrrev_b32_e32 v2, 2, v2
	s_delay_alu instid0(VALU_DEP_3) | instskip(NEXT) | instid1(VALU_DEP_2)
	v_cmp_gt_u16_e32 vcc_lo, 27, v0
	v_lshl_add_u32 v2, v2, 2, v2
	scratch_store_b64 off, v[1:2], off offset:8 ; 8-byte Folded Spill
	v_sub_nc_u32_e32 v1, v3, v2
	v_and_b32_e32 v2, 0xffff, v0
	s_delay_alu instid0(VALU_DEP_2) | instskip(NEXT) | instid1(VALU_DEP_2)
	v_mul_u32_u24_e32 v140, 0x1cb, v1
	v_lshlrev_b32_e32 v255, 4, v2
	s_delay_alu instid0(VALU_DEP_2)
	v_lshlrev_b32_e32 v0, 4, v140
	s_clause 0x1
	scratch_store_b32 off, v2, off
	scratch_store_b32 off, v0, off offset:4
	s_and_saveexec_b32 s3, vcc_lo
	s_cbranch_execz .LBB0_3
; %bb.2:
	s_clause 0x1
	scratch_load_b64 v[0:1], off, off offset:8
	scratch_load_b32 v173, off, off
	s_load_b64 s[4:5], s[0:1], 0x18
	s_wait_kmcnt 0x0
	s_load_b128 s[4:7], s[4:5], 0x0
	s_wait_loadcnt 0x0
	s_wait_kmcnt 0x0
	v_mad_co_u64_u32 v[32:33], null, s4, v173, 0
	s_delay_alu instid0(VALU_DEP_1) | instskip(NEXT) | instid1(VALU_DEP_1)
	v_dual_mov_b32 v2, v0 :: v_dual_mov_b32 v1, v33
	v_mad_co_u64_u32 v[16:17], null, s6, v2, 0
	s_delay_alu instid0(VALU_DEP_1) | instskip(NEXT) | instid1(VALU_DEP_1)
	v_mov_b32_e32 v0, v17
	v_mad_co_u64_u32 v[2:3], null, s7, v2, v[0:1]
	s_delay_alu instid0(VALU_DEP_1)
	v_mov_b32_e32 v17, v2
	v_mad_co_u64_u32 v[18:19], null, s5, v173, v[1:2]
	s_mul_u64 s[4:5], s[4:5], 0x1b0
	s_clause 0x3
	global_load_b128 v[0:3], v255, s[8:9]
	global_load_b128 v[4:7], v255, s[8:9] offset:432
	global_load_b128 v[8:11], v255, s[8:9] offset:864
	;; [unrolled: 1-line block ×3, first 2 shown]
	v_lshlrev_b64_e32 v[34:35], 4, v[16:17]
	v_mov_b32_e32 v33, v18
	s_clause 0x3
	global_load_b128 v[16:19], v255, s[8:9] offset:1728
	global_load_b128 v[20:23], v255, s[8:9] offset:2160
	;; [unrolled: 1-line block ×4, first 2 shown]
	v_add_co_u32 v42, s2, s10, v34
	s_delay_alu instid0(VALU_DEP_1)
	v_add_co_ci_u32_e64 v43, s2, s11, v35, s2
	v_lshlrev_b64_e32 v[40:41], 4, v[32:33]
	s_clause 0x1
	global_load_b128 v[32:35], v255, s[8:9] offset:3456
	global_load_b128 v[36:39], v255, s[8:9] offset:3888
	v_add_co_u32 v56, s2, v42, v40
	s_wait_alu 0xf1ff
	v_add_co_ci_u32_e64 v57, s2, v43, v41, s2
	s_clause 0x1
	global_load_b128 v[40:43], v255, s[8:9] offset:4320
	global_load_b128 v[44:47], v255, s[8:9] offset:4752
	s_wait_alu 0xfffe
	v_add_co_u32 v60, s2, v56, s4
	s_wait_alu 0xf1ff
	v_add_co_ci_u32_e64 v61, s2, s5, v57, s2
	s_clause 0x1
	global_load_b128 v[48:51], v255, s[8:9] offset:5184
	global_load_b128 v[52:55], v255, s[8:9] offset:5616
	v_add_co_u32 v64, s2, v60, s4
	s_wait_alu 0xf1ff
	v_add_co_ci_u32_e64 v65, s2, s5, v61, s2
	s_clause 0x1
	global_load_b128 v[56:59], v[56:57], off
	global_load_b128 v[60:63], v[60:61], off
	v_add_co_u32 v68, s2, v64, s4
	s_wait_alu 0xf1ff
	v_add_co_ci_u32_e64 v69, s2, s5, v65, s2
	s_delay_alu instid0(VALU_DEP_2) | instskip(SKIP_1) | instid1(VALU_DEP_2)
	v_add_co_u32 v72, s2, v68, s4
	s_wait_alu 0xf1ff
	v_add_co_ci_u32_e64 v73, s2, s5, v69, s2
	s_clause 0x1
	global_load_b128 v[64:67], v[64:65], off
	global_load_b128 v[68:71], v[68:69], off
	v_add_co_u32 v76, s2, v72, s4
	s_wait_alu 0xf1ff
	v_add_co_ci_u32_e64 v77, s2, s5, v73, s2
	global_load_b128 v[72:75], v[72:73], off
	v_add_co_u32 v80, s2, v76, s4
	s_wait_alu 0xf1ff
	v_add_co_ci_u32_e64 v81, s2, s5, v77, s2
	;; [unrolled: 4-line block ×12, first 2 shown]
	s_clause 0x1
	global_load_b128 v[116:119], v255, s[8:9] offset:6048
	global_load_b128 v[120:123], v255, s[8:9] offset:6480
	global_load_b128 v[124:127], v[124:125], off
	global_load_b128 v[128:131], v255, s[8:9] offset:6912
	global_load_b128 v[132:135], v[132:133], off
	s_wait_loadcnt 0x13
	v_mul_f64_e32 v[136:137], v[58:59], v[2:3]
	v_mul_f64_e32 v[2:3], v[56:57], v[2:3]
	s_wait_loadcnt 0x12
	v_mul_f64_e32 v[138:139], v[62:63], v[6:7]
	v_mul_f64_e32 v[6:7], v[60:61], v[6:7]
	;; [unrolled: 3-line block ×14, first 2 shown]
	v_fma_f64 v[54:55], v[56:57], v[0:1], v[136:137]
	v_fma_f64 v[56:57], v[58:59], v[0:1], -v[2:3]
	v_fma_f64 v[0:1], v[60:61], v[4:5], v[138:139]
	v_fma_f64 v[2:3], v[62:63], v[4:5], -v[6:7]
	s_wait_loadcnt 0x4
	v_mul_f64_e32 v[167:168], v[114:115], v[118:119]
	v_mul_f64_e32 v[118:119], v[112:113], v[118:119]
	s_wait_loadcnt 0x2
	v_mul_f64_e32 v[169:170], v[126:127], v[122:123]
	v_mul_f64_e32 v[122:123], v[124:125], v[122:123]
	;; [unrolled: 3-line block ×3, first 2 shown]
	v_fma_f64 v[4:5], v[64:65], v[8:9], v[141:142]
	v_fma_f64 v[6:7], v[66:67], v[8:9], -v[10:11]
	v_fma_f64 v[8:9], v[68:69], v[12:13], v[143:144]
	v_fma_f64 v[10:11], v[70:71], v[12:13], -v[14:15]
	;; [unrolled: 2-line block ×12, first 2 shown]
	v_lshlrev_b32_e32 v53, 4, v140
	v_fma_f64 v[58:59], v[112:113], v[116:117], v[167:168]
	v_fma_f64 v[60:61], v[114:115], v[116:117], -v[118:119]
	v_fma_f64 v[62:63], v[124:125], v[120:121], v[169:170]
	v_fma_f64 v[64:65], v[126:127], v[120:121], -v[122:123]
	;; [unrolled: 2-line block ×3, first 2 shown]
	v_lshl_add_u32 v52, v173, 4, v53
	v_add_nc_u32_e32 v53, v53, v255
	ds_store_b128 v52, v[54:57]
	ds_store_b128 v53, v[0:3] offset:432
	ds_store_b128 v53, v[4:7] offset:864
	;; [unrolled: 1-line block ×16, first 2 shown]
.LBB0_3:
	s_or_b32 exec_lo, exec_lo, s3
	s_clause 0x1
	s_load_b64 s[2:3], s[0:1], 0x20
	s_load_b64 s[4:5], s[0:1], 0x8
	global_wb scope:SCOPE_SE
	s_wait_storecnt_dscnt 0x0
	s_wait_kmcnt 0x0
	s_barrier_signal -1
	s_barrier_wait -1
	global_inv scope:SCOPE_SE
                                        ; implicit-def: $vgpr32_vgpr33
                                        ; implicit-def: $vgpr52_vgpr53
                                        ; implicit-def: $vgpr56_vgpr57
                                        ; implicit-def: $vgpr60_vgpr61
                                        ; implicit-def: $vgpr64_vgpr65
                                        ; implicit-def: $vgpr68_vgpr69
                                        ; implicit-def: $vgpr72_vgpr73
                                        ; implicit-def: $vgpr76_vgpr77
                                        ; implicit-def: $vgpr84_vgpr85
                                        ; implicit-def: $vgpr88_vgpr89
                                        ; implicit-def: $vgpr92_vgpr93
                                        ; implicit-def: $vgpr96_vgpr97
                                        ; implicit-def: $vgpr80_vgpr81
                                        ; implicit-def: $vgpr48_vgpr49
                                        ; implicit-def: $vgpr44_vgpr45
                                        ; implicit-def: $vgpr40_vgpr41
                                        ; implicit-def: $vgpr36_vgpr37
	s_and_saveexec_b32 s0, vcc_lo
	s_cbranch_execz .LBB0_5
; %bb.4:
	v_lshl_add_u32 v0, v140, 4, v255
	ds_load_b128 v[32:35], v0
	ds_load_b128 v[52:55], v0 offset:432
	ds_load_b128 v[56:59], v0 offset:864
	;; [unrolled: 1-line block ×16, first 2 shown]
.LBB0_5:
	s_wait_alu 0xfffe
	s_or_b32 exec_lo, exec_lo, s0
	s_wait_dscnt 0x0
	v_add_f64_e64 v[28:29], v[54:55], -v[38:39]
	v_add_f64_e64 v[30:31], v[58:59], -v[42:43]
	s_mov_b32 s24, 0x5d8e7cdc
	s_mov_b32 s26, 0x2a9d6da3
	;; [unrolled: 1-line block ×4, first 2 shown]
	v_add_f64_e32 v[130:131], v[52:53], v[36:37]
	v_add_f64_e64 v[104:105], v[56:57], -v[40:41]
	s_mov_b32 s0, 0x370991
	s_mov_b32 s38, 0x4363dd80
	;; [unrolled: 1-line block ×6, first 2 shown]
	v_add_f64_e32 v[102:103], v[56:57], v[40:41]
	s_mov_b32 s6, 0x75d4884
	s_mov_b32 s7, 0x3fe7a5f6
	v_add_f64_e64 v[100:101], v[52:53], -v[36:37]
	v_add_f64_e32 v[163:164], v[54:55], v[38:39]
	v_add_f64_e32 v[106:107], v[58:59], v[42:43]
	v_add_f64_e64 v[108:109], v[62:63], -v[46:47]
	s_mov_b32 s34, 0x7c9e640b
	s_mov_b32 s35, 0xbfeca52d
	v_add_f64_e32 v[110:111], v[60:61], v[44:45]
	s_mov_b32 s10, 0x2b2883cd
	s_mov_b32 s28, 0xeb564b22
	;; [unrolled: 1-line block ×4, first 2 shown]
	v_add_f64_e64 v[112:113], v[60:61], -v[44:45]
	v_add_f64_e32 v[118:119], v[62:63], v[46:47]
	s_mov_b32 s36, 0x6c9a05f6
	s_mov_b32 s37, 0xbfe9895b
	v_add_f64_e64 v[237:238], v[66:67], -v[50:51]
	v_add_f64_e32 v[114:115], v[64:65], v[48:49]
	s_mov_b32 s14, 0x3259b75e
	s_mov_b32 s15, 0x3fb79ee6
	v_add_f64_e64 v[243:244], v[64:65], -v[48:49]
	v_add_f64_e32 v[126:127], v[66:67], v[50:51]
	v_mul_f64_e32 v[0:1], s[24:25], v[28:29]
	v_mul_f64_e32 v[2:3], s[26:27], v[30:31]
	;; [unrolled: 1-line block ×5, first 2 shown]
	s_mov_b32 s40, 0xacd6c6b4
	s_mov_b32 s41, 0xbfc7851a
	v_mul_f64_e32 v[4:5], s[26:27], v[104:105]
	v_mul_f64_e32 v[8:9], s[28:29], v[104:105]
	v_add_f64_e64 v[245:246], v[70:71], -v[82:83]
	v_mul_f64_e32 v[14:15], s[40:41], v[30:31]
	s_mov_b32 s30, 0x923c349f
	s_mov_b32 s31, 0xbfeec746
	v_add_f64_e32 v[122:123], v[68:69], v[80:81]
	s_mov_b32 s16, 0xc61f0d01
	s_mov_b32 s17, 0xbfd183b1
	v_add_f64_e64 v[249:250], v[68:69], -v[80:81]
	v_mul_f64_e32 v[12:13], s[36:37], v[104:105]
	v_add_f64_e32 v[138:139], v[70:71], v[82:83]
	s_mov_b32 s49, 0x3feec746
	s_mov_b32 s48, s30
	v_add_f64_e64 v[253:254], v[74:75], -v[98:99]
	v_mul_f64_e32 v[22:23], s[48:49], v[30:31]
	;; [unrolled: 5-line block ×5, first 2 shown]
	v_add_f64_e32 v[155:156], v[78:79], v[94:95]
	s_clause 0x2
	scratch_store_b64 off, v[2:3], off offset:20
	scratch_store_b64 off, v[0:1], off offset:108
	;; [unrolled: 1-line block ×3, first 2 shown]
	s_wait_alu 0xfffe
	v_fma_f64 v[0:1], v[130:131], s[0:1], v[0:1]
	v_fma_f64 v[2:3], v[102:103], s[6:7], v[2:3]
	v_add_f64_e64 v[136:137], v[86:87], -v[90:91]
	scratch_store_b64 off, v[4:5], off offset:36 ; 8-byte Folded Spill
	v_fma_f64 v[4:5], v[106:107], s[6:7], -v[4:5]
	v_add_f64_e32 v[151:152], v[84:85], v[88:89]
	s_mov_b32 s22, 0x7faef3
	s_mov_b32 s23, 0xbfef7484
	v_add_f64_e64 v[141:142], v[84:85], -v[88:89]
	v_mul_f64_e32 v[24:25], s[48:49], v[104:105]
	v_add_f64_e32 v[159:160], v[86:87], v[90:91]
	v_mul_f64_e32 v[153:154], s[26:27], v[100:101]
	s_mov_b32 s45, 0x3fd71e95
	s_mov_b32 s44, s24
	v_mul_f64_e32 v[215:216], s[34:35], v[28:29]
	v_mul_f64_e32 v[217:218], s[34:35], v[100:101]
	s_mov_b32 s47, 0x3fc7851a
	s_mov_b32 s46, s40
	v_mul_f64_e32 v[219:220], s[28:29], v[28:29]
	v_mul_f64_e32 v[221:222], s[28:29], v[100:101]
	;; [unrolled: 1-line block ×3, first 2 shown]
	s_mov_b32 s53, 0x3fe9895b
	v_mul_f64_e32 v[165:166], s[24:25], v[124:125]
	v_mul_f64_e32 v[181:182], s[38:39], v[124:125]
	s_mov_b32 s52, s36
	v_mul_f64_e32 v[223:224], s[30:31], v[28:29]
	v_fma_f64 v[18:19], v[102:103], s[20:21], v[18:19]
	v_mul_f64_e32 v[225:226], s[30:31], v[100:101]
	v_mul_f64_e32 v[161:162], s[34:35], v[243:244]
	;; [unrolled: 1-line block ×11, first 2 shown]
	v_add_f64_e32 v[0:1], v[32:33], v[0:1]
	v_mul_f64_e32 v[183:184], s[40:41], v[132:133]
	v_mul_f64_e32 v[233:234], s[38:39], v[28:29]
	;; [unrolled: 1-line block ×20, first 2 shown]
	scratch_store_b64 off, v[8:9], off offset:220 ; 8-byte Folded Spill
	v_fma_f64 v[8:9], v[106:107], s[14:15], -v[8:9]
	scratch_store_b64 off, v[6:7], off offset:196 ; 8-byte Folded Spill
	v_fma_f64 v[6:7], v[102:103], s[14:15], v[6:7]
	scratch_store_b64 off, v[14:15], off offset:340 ; 8-byte Folded Spill
	v_fma_f64 v[14:15], v[102:103], s[22:23], v[14:15]
	;; [unrolled: 2-line block ×3, first 2 shown]
	scratch_store_b64 off, v[12:13], off offset:332 ; 8-byte Folded Spill
	v_fma_f64 v[12:13], v[106:107], s[18:19], -v[12:13]
	scratch_store_b64 off, v[16:17], off offset:404 ; 8-byte Folded Spill
	v_fma_f64 v[16:17], v[106:107], s[22:23], -v[16:17]
	;; [unrolled: 2-line block ×3, first 2 shown]
	scratch_store_b64 off, v[22:23], off offset:444 ; 8-byte Folded Spill
	v_fma_f64 v[22:23], v[102:103], s[16:17], v[22:23]
	scratch_store_b64 off, v[24:25], off offset:604 ; 8-byte Folded Spill
	v_add_f64_e32 v[0:1], v[2:3], v[0:1]
	v_mul_f64_e32 v[2:3], s[24:25], v[100:101]
	v_fma_f64 v[24:25], v[106:107], s[16:17], -v[24:25]
	scratch_store_b64 off, v[26:27], off offset:524 ; 8-byte Folded Spill
	v_fma_f64 v[26:27], v[102:103], s[10:11], v[26:27]
	v_fma_f64 v[116:117], v[106:107], s[10:11], -v[157:158]
	v_fma_f64 v[30:31], v[102:103], s[0:1], v[231:232]
	v_fma_f64 v[100:101], v[106:107], s[0:1], -v[239:240]
	scratch_store_b64 off, v[2:3], off offset:188 ; 8-byte Folded Spill
	v_fma_f64 v[2:3], v[163:164], s[0:1], -v[2:3]
	s_delay_alu instid0(VALU_DEP_1) | instskip(NEXT) | instid1(VALU_DEP_1)
	v_add_f64_e32 v[2:3], v[34:35], v[2:3]
	v_add_f64_e32 v[2:3], v[4:5], v[2:3]
	v_mul_f64_e32 v[4:5], s[34:35], v[108:109]
	scratch_store_b64 off, v[4:5], off offset:52 ; 8-byte Folded Spill
	v_fma_f64 v[4:5], v[110:111], s[10:11], v[4:5]
	s_delay_alu instid0(VALU_DEP_1) | instskip(SKIP_3) | instid1(VALU_DEP_1)
	v_add_f64_e32 v[0:1], v[4:5], v[0:1]
	v_mul_f64_e32 v[4:5], s[34:35], v[112:113]
	scratch_store_b64 off, v[4:5], off offset:68 ; 8-byte Folded Spill
	v_fma_f64 v[4:5], v[118:119], s[10:11], -v[4:5]
	v_add_f64_e32 v[2:3], v[4:5], v[2:3]
	v_mul_f64_e32 v[4:5], s[28:29], v[237:238]
	scratch_store_b64 off, v[4:5], off offset:60 ; 8-byte Folded Spill
	v_fma_f64 v[4:5], v[114:115], s[14:15], v[4:5]
	s_delay_alu instid0(VALU_DEP_1) | instskip(SKIP_3) | instid1(VALU_DEP_1)
	v_add_f64_e32 v[0:1], v[4:5], v[0:1]
	v_mul_f64_e32 v[4:5], s[28:29], v[243:244]
	scratch_store_b64 off, v[4:5], off offset:92 ; 8-byte Folded Spill
	v_fma_f64 v[4:5], v[126:127], s[14:15], -v[4:5]
	;; [unrolled: 9-line block ×6, first 2 shown]
	v_add_f64_e32 v[2:3], v[4:5], v[2:3]
	v_mul_f64_e32 v[4:5], s[26:27], v[28:29]
	scratch_store_b64 off, v[4:5], off offset:588 ; 8-byte Folded Spill
	v_fma_f64 v[4:5], v[130:131], s[6:7], v[4:5]
	s_delay_alu instid0(VALU_DEP_1) | instskip(NEXT) | instid1(VALU_DEP_1)
	v_add_f64_e32 v[4:5], v[32:33], v[4:5]
	v_add_f64_e32 v[4:5], v[6:7], v[4:5]
	v_fma_f64 v[6:7], v[163:164], s[6:7], -v[153:154]
	s_delay_alu instid0(VALU_DEP_1) | instskip(NEXT) | instid1(VALU_DEP_1)
	v_add_f64_e32 v[6:7], v[34:35], v[6:7]
	v_add_f64_e32 v[6:7], v[8:9], v[6:7]
	v_mul_f64_e32 v[8:9], s[36:37], v[108:109]
	scratch_store_b64 off, v[8:9], off offset:204 ; 8-byte Folded Spill
	v_fma_f64 v[8:9], v[110:111], s[18:19], v[8:9]
	s_delay_alu instid0(VALU_DEP_1) | instskip(SKIP_3) | instid1(VALU_DEP_1)
	v_add_f64_e32 v[4:5], v[8:9], v[4:5]
	v_mul_f64_e32 v[8:9], s[36:37], v[112:113]
	scratch_store_b64 off, v[8:9], off offset:236 ; 8-byte Folded Spill
	v_fma_f64 v[8:9], v[118:119], s[18:19], -v[8:9]
	v_add_f64_e32 v[6:7], v[8:9], v[6:7]
	v_mul_f64_e32 v[8:9], s[40:41], v[237:238]
	scratch_store_b64 off, v[8:9], off offset:228 ; 8-byte Folded Spill
	v_fma_f64 v[8:9], v[114:115], s[22:23], v[8:9]
	s_delay_alu instid0(VALU_DEP_1) | instskip(SKIP_3) | instid1(VALU_DEP_1)
	v_add_f64_e32 v[4:5], v[8:9], v[4:5]
	v_mul_f64_e32 v[8:9], s[40:41], v[243:244]
	scratch_store_b64 off, v[8:9], off offset:276 ; 8-byte Folded Spill
	v_fma_f64 v[8:9], v[126:127], s[22:23], -v[8:9]
	;; [unrolled: 9-line block ×6, first 2 shown]
	v_add_f64_e32 v[6:7], v[8:9], v[6:7]
	v_fma_f64 v[8:9], v[130:131], s[10:11], v[215:216]
	s_delay_alu instid0(VALU_DEP_1) | instskip(NEXT) | instid1(VALU_DEP_1)
	v_add_f64_e32 v[8:9], v[32:33], v[8:9]
	v_add_f64_e32 v[8:9], v[10:11], v[8:9]
	v_fma_f64 v[10:11], v[163:164], s[10:11], -v[217:218]
	s_delay_alu instid0(VALU_DEP_1) | instskip(NEXT) | instid1(VALU_DEP_1)
	v_add_f64_e32 v[10:11], v[34:35], v[10:11]
	v_add_f64_e32 v[10:11], v[12:13], v[10:11]
	v_mul_f64_e32 v[12:13], s[46:47], v[108:109]
	scratch_store_b64 off, v[12:13], off offset:300 ; 8-byte Folded Spill
	v_fma_f64 v[12:13], v[110:111], s[22:23], v[12:13]
	s_delay_alu instid0(VALU_DEP_1)
	v_add_f64_e32 v[8:9], v[12:13], v[8:9]
	v_mul_f64_e32 v[12:13], s[46:47], v[112:113]
	s_mov_b32 s47, 0x3fe58eea
	s_mov_b32 s46, s26
	s_wait_alu 0xfffe
	v_mul_f64_e32 v[185:186], s[46:47], v[128:129]
	v_mul_f64_e32 v[199:200], s[46:47], v[132:133]
	;; [unrolled: 1-line block ×3, first 2 shown]
	scratch_store_b64 off, v[12:13], off offset:364 ; 8-byte Folded Spill
	v_fma_f64 v[12:13], v[118:119], s[22:23], -v[12:13]
	s_delay_alu instid0(VALU_DEP_1) | instskip(SKIP_3) | instid1(VALU_DEP_1)
	v_add_f64_e32 v[10:11], v[12:13], v[10:11]
	v_mul_f64_e32 v[12:13], s[48:49], v[237:238]
	scratch_store_b64 off, v[12:13], off offset:324 ; 8-byte Folded Spill
	v_fma_f64 v[12:13], v[114:115], s[16:17], v[12:13]
	v_add_f64_e32 v[8:9], v[12:13], v[8:9]
	v_mul_f64_e32 v[12:13], s[48:49], v[243:244]
	scratch_store_b64 off, v[12:13], off offset:428 ; 8-byte Folded Spill
	v_fma_f64 v[12:13], v[126:127], s[16:17], -v[12:13]
	s_delay_alu instid0(VALU_DEP_1) | instskip(SKIP_3) | instid1(VALU_DEP_1)
	v_add_f64_e32 v[10:11], v[12:13], v[10:11]
	v_mul_f64_e32 v[12:13], s[46:47], v[245:246]
	scratch_store_b64 off, v[12:13], off offset:420 ; 8-byte Folded Spill
	v_fma_f64 v[12:13], v[122:123], s[6:7], v[12:13]
	v_add_f64_e32 v[8:9], v[12:13], v[8:9]
	v_mul_f64_e32 v[12:13], s[46:47], v[249:250]
	scratch_store_b64 off, v[12:13], off offset:548 ; 8-byte Folded Spill
	v_fma_f64 v[12:13], v[138:139], s[6:7], -v[12:13]
	s_delay_alu instid0(VALU_DEP_1) | instskip(SKIP_3) | instid1(VALU_DEP_1)
	v_add_f64_e32 v[10:11], v[12:13], v[10:11]
	v_mul_f64_e32 v[12:13], s[24:25], v[253:254]
	scratch_store_b64 off, v[12:13], off offset:516 ; 8-byte Folded Spill
	v_fma_f64 v[12:13], v[134:135], s[0:1], v[12:13]
	v_add_f64_e32 v[8:9], v[12:13], v[8:9]
	v_fma_f64 v[12:13], v[147:148], s[0:1], -v[165:166]
	s_delay_alu instid0(VALU_DEP_1) | instskip(SKIP_3) | instid1(VALU_DEP_1)
	v_add_f64_e32 v[10:11], v[12:13], v[10:11]
	v_mul_f64_e32 v[12:13], s[28:29], v[128:129]
	scratch_store_b64 off, v[12:13], off offset:412 ; 8-byte Folded Spill
	v_fma_f64 v[12:13], v[143:144], s[14:15], v[12:13]
	v_add_f64_e32 v[8:9], v[12:13], v[8:9]
	v_mul_f64_e32 v[12:13], s[28:29], v[132:133]
	scratch_store_b64 off, v[12:13], off offset:468 ; 8-byte Folded Spill
	v_fma_f64 v[12:13], v[155:156], s[14:15], -v[12:13]
	s_delay_alu instid0(VALU_DEP_1) | instskip(SKIP_3) | instid1(VALU_DEP_1)
	v_add_f64_e32 v[10:11], v[12:13], v[10:11]
	v_mul_f64_e32 v[12:13], s[38:39], v[136:137]
	scratch_store_b64 off, v[12:13], off offset:396 ; 8-byte Folded Spill
	v_fma_f64 v[12:13], v[151:152], s[20:21], v[12:13]
	v_add_f64_e32 v[8:9], v[12:13], v[8:9]
	v_mul_f64_e32 v[12:13], s[38:39], v[141:142]
	scratch_store_b64 off, v[12:13], off offset:460 ; 8-byte Folded Spill
	v_fma_f64 v[12:13], v[159:160], s[20:21], -v[12:13]
	s_delay_alu instid0(VALU_DEP_1) | instskip(SKIP_1) | instid1(VALU_DEP_1)
	v_add_f64_e32 v[10:11], v[12:13], v[10:11]
	v_fma_f64 v[12:13], v[130:131], s[14:15], v[219:220]
	v_add_f64_e32 v[12:13], v[32:33], v[12:13]
	s_delay_alu instid0(VALU_DEP_1) | instskip(SKIP_1) | instid1(VALU_DEP_1)
	v_add_f64_e32 v[12:13], v[14:15], v[12:13]
	v_fma_f64 v[14:15], v[163:164], s[14:15], -v[221:222]
	v_add_f64_e32 v[14:15], v[34:35], v[14:15]
	s_delay_alu instid0(VALU_DEP_1) | instskip(SKIP_3) | instid1(VALU_DEP_1)
	v_add_f64_e32 v[14:15], v[16:17], v[14:15]
	v_mul_f64_e32 v[16:17], s[48:49], v[108:109]
	scratch_store_b64 off, v[16:17], off offset:372 ; 8-byte Folded Spill
	v_fma_f64 v[16:17], v[110:111], s[16:17], v[16:17]
	v_add_f64_e32 v[12:13], v[16:17], v[12:13]
	v_mul_f64_e32 v[16:17], s[48:49], v[112:113]
	scratch_store_b64 off, v[16:17], off offset:484 ; 8-byte Folded Spill
	v_fma_f64 v[16:17], v[118:119], s[16:17], -v[16:17]
	s_delay_alu instid0(VALU_DEP_1) | instskip(SKIP_3) | instid1(VALU_DEP_1)
	v_add_f64_e32 v[14:15], v[16:17], v[14:15]
	v_mul_f64_e32 v[16:17], s[44:45], v[237:238]
	scratch_store_b64 off, v[16:17], off offset:388 ; 8-byte Folded Spill
	v_fma_f64 v[16:17], v[114:115], s[0:1], v[16:17]
	v_add_f64_e32 v[12:13], v[16:17], v[12:13]
	v_mul_f64_e32 v[16:17], s[44:45], v[243:244]
	scratch_store_b64 off, v[16:17], off offset:564 ; 8-byte Folded Spill
	v_fma_f64 v[16:17], v[126:127], s[0:1], -v[16:17]
	s_delay_alu instid0(VALU_DEP_1) | instskip(SKIP_3) | instid1(VALU_DEP_1)
	v_add_f64_e32 v[14:15], v[16:17], v[14:15]
	v_mul_f64_e32 v[16:17], s[34:35], v[245:246]
	scratch_store_b64 off, v[16:17], off offset:508 ; 8-byte Folded Spill
	v_fma_f64 v[16:17], v[122:123], s[10:11], v[16:17]
	v_add_f64_e32 v[12:13], v[16:17], v[12:13]
	v_fma_f64 v[16:17], v[138:139], s[10:11], -v[145:146]
	s_delay_alu instid0(VALU_DEP_1) | instskip(SKIP_3) | instid1(VALU_DEP_1)
	v_add_f64_e32 v[14:15], v[16:17], v[14:15]
	v_mul_f64_e32 v[16:17], s[38:39], v[253:254]
	scratch_store_b64 off, v[16:17], off offset:620 ; 8-byte Folded Spill
	v_fma_f64 v[16:17], v[134:135], s[20:21], v[16:17]
	v_add_f64_e32 v[12:13], v[16:17], v[12:13]
	;; [unrolled: 7-line block ×3, first 2 shown]
	v_mul_f64_e32 v[16:17], s[52:53], v[132:133]
	scratch_store_b64 off, v[16:17], off offset:572 ; 8-byte Folded Spill
	v_fma_f64 v[16:17], v[155:156], s[18:19], -v[16:17]
	s_delay_alu instid0(VALU_DEP_1) | instskip(SKIP_3) | instid1(VALU_DEP_1)
	v_add_f64_e32 v[14:15], v[16:17], v[14:15]
	v_mul_f64_e32 v[16:17], s[46:47], v[136:137]
	scratch_store_b64 off, v[16:17], off offset:476 ; 8-byte Folded Spill
	v_fma_f64 v[16:17], v[151:152], s[6:7], v[16:17]
	v_add_f64_e32 v[12:13], v[16:17], v[12:13]
	v_mul_f64_e32 v[16:17], s[46:47], v[141:142]
	scratch_store_b64 off, v[16:17], off offset:556 ; 8-byte Folded Spill
	v_fma_f64 v[16:17], v[159:160], s[6:7], -v[16:17]
	s_delay_alu instid0(VALU_DEP_1) | instskip(SKIP_1) | instid1(VALU_DEP_1)
	v_add_f64_e32 v[14:15], v[16:17], v[14:15]
	v_fma_f64 v[16:17], v[130:131], s[16:17], v[223:224]
	v_add_f64_e32 v[16:17], v[32:33], v[16:17]
	s_delay_alu instid0(VALU_DEP_1) | instskip(SKIP_1) | instid1(VALU_DEP_1)
	v_add_f64_e32 v[16:17], v[18:19], v[16:17]
	v_fma_f64 v[18:19], v[163:164], s[16:17], -v[225:226]
	v_add_f64_e32 v[18:19], v[34:35], v[18:19]
	s_delay_alu instid0(VALU_DEP_1) | instskip(SKIP_3) | instid1(VALU_DEP_1)
	v_add_f64_e32 v[18:19], v[20:21], v[18:19]
	v_mul_f64_e32 v[20:21], s[46:47], v[108:109]
	scratch_store_b64 off, v[20:21], off offset:436 ; 8-byte Folded Spill
	v_fma_f64 v[20:21], v[110:111], s[6:7], v[20:21]
	v_add_f64_e32 v[16:17], v[20:21], v[16:17]
	v_mul_f64_e32 v[20:21], s[46:47], v[112:113]
	v_mul_f64_e32 v[112:113], s[42:43], v[124:125]
	scratch_store_b64 off, v[20:21], off offset:596 ; 8-byte Folded Spill
	v_fma_f64 v[20:21], v[118:119], s[6:7], -v[20:21]
	s_delay_alu instid0(VALU_DEP_1)
	v_add_f64_e32 v[18:19], v[20:21], v[18:19]
	v_mul_f64_e32 v[20:21], s[34:35], v[237:238]
	s_mov_b32 s35, 0x3fefdd0d
	s_mov_b32 s34, s28
	s_wait_alu 0xfffe
	v_mul_f64_e32 v[175:176], s[34:35], v[253:254]
	v_mul_f64_e32 v[205:206], s[34:35], v[124:125]
	;; [unrolled: 1-line block ×6, first 2 shown]
	scratch_store_b64 off, v[20:21], off offset:452 ; 8-byte Folded Spill
	v_fma_f64 v[20:21], v[114:115], s[10:11], v[20:21]
	s_delay_alu instid0(VALU_DEP_1) | instskip(SKIP_1) | instid1(VALU_DEP_1)
	v_add_f64_e32 v[16:17], v[20:21], v[16:17]
	v_fma_f64 v[20:21], v[126:127], s[10:11], -v[161:162]
	v_add_f64_e32 v[18:19], v[20:21], v[18:19]
	v_mul_f64_e32 v[20:21], s[40:41], v[245:246]
	v_mul_f64_e32 v[245:246], s[30:31], v[128:129]
	scratch_store_b64 off, v[20:21], off offset:636 ; 8-byte Folded Spill
	v_fma_f64 v[20:21], v[122:123], s[22:23], v[20:21]
	s_delay_alu instid0(VALU_DEP_1) | instskip(SKIP_1) | instid1(VALU_DEP_1)
	v_add_f64_e32 v[16:17], v[20:21], v[16:17]
	v_fma_f64 v[20:21], v[138:139], s[22:23], -v[189:190]
	v_add_f64_e32 v[18:19], v[20:21], v[18:19]
	v_fma_f64 v[20:21], v[134:135], s[14:15], v[175:176]
	s_delay_alu instid0(VALU_DEP_1) | instskip(SKIP_1) | instid1(VALU_DEP_1)
	v_add_f64_e32 v[16:17], v[20:21], v[16:17]
	v_fma_f64 v[20:21], v[147:148], s[14:15], -v[205:206]
	v_add_f64_e32 v[18:19], v[20:21], v[18:19]
	v_mul_f64_e32 v[20:21], s[24:25], v[128:129]
	scratch_store_b64 off, v[20:21], off offset:612 ; 8-byte Folded Spill
	v_fma_f64 v[20:21], v[143:144], s[0:1], v[20:21]
	s_delay_alu instid0(VALU_DEP_1) | instskip(SKIP_1) | instid1(VALU_DEP_1)
	v_add_f64_e32 v[16:17], v[20:21], v[16:17]
	v_fma_f64 v[20:21], v[155:156], s[0:1], -v[167:168]
	v_add_f64_e32 v[18:19], v[20:21], v[18:19]
	v_mul_f64_e32 v[20:21], s[36:37], v[136:137]
	scratch_store_b64 off, v[20:21], off offset:580 ; 8-byte Folded Spill
	v_fma_f64 v[20:21], v[151:152], s[18:19], v[20:21]
	s_delay_alu instid0(VALU_DEP_1) | instskip(SKIP_1) | instid1(VALU_DEP_1)
	v_add_f64_e32 v[16:17], v[20:21], v[16:17]
	v_fma_f64 v[20:21], v[159:160], s[18:19], -v[149:150]
	v_add_f64_e32 v[18:19], v[20:21], v[18:19]
	v_fma_f64 v[20:21], v[130:131], s[18:19], v[227:228]
	s_delay_alu instid0(VALU_DEP_1) | instskip(NEXT) | instid1(VALU_DEP_1)
	v_add_f64_e32 v[20:21], v[32:33], v[20:21]
	v_add_f64_e32 v[20:21], v[22:23], v[20:21]
	v_fma_f64 v[22:23], v[163:164], s[18:19], -v[229:230]
	s_delay_alu instid0(VALU_DEP_1) | instskip(NEXT) | instid1(VALU_DEP_1)
	v_add_f64_e32 v[22:23], v[34:35], v[22:23]
	v_add_f64_e32 v[22:23], v[24:25], v[22:23]
	v_mul_f64_e32 v[24:25], s[24:25], v[108:109]
	scratch_store_b64 off, v[24:25], off offset:532 ; 8-byte Folded Spill
	v_fma_f64 v[24:25], v[110:111], s[0:1], v[24:25]
	s_delay_alu instid0(VALU_DEP_1) | instskip(SKIP_1) | instid1(VALU_DEP_1)
	v_add_f64_e32 v[20:21], v[24:25], v[20:21]
	v_fma_f64 v[24:25], v[118:119], s[0:1], -v[171:172]
	v_add_f64_e32 v[22:23], v[24:25], v[22:23]
	v_mul_f64_e32 v[24:25], s[38:39], v[237:238]
	scratch_store_b64 off, v[24:25], off offset:540 ; 8-byte Folded Spill
	v_fma_f64 v[24:25], v[114:115], s[20:21], v[24:25]
	s_delay_alu instid0(VALU_DEP_1) | instskip(SKIP_1) | instid1(VALU_DEP_1)
	v_add_f64_e32 v[20:21], v[24:25], v[20:21]
	v_fma_f64 v[24:25], v[126:127], s[20:21], -v[191:192]
	v_add_f64_e32 v[22:23], v[24:25], v[22:23]
	v_fma_f64 v[24:25], v[122:123], s[14:15], v[173:174]
	s_delay_alu instid0(VALU_DEP_1) | instskip(SKIP_1) | instid1(VALU_DEP_1)
	v_add_f64_e32 v[20:21], v[24:25], v[20:21]
	v_fma_f64 v[24:25], v[138:139], s[14:15], -v[203:204]
	v_add_f64_e32 v[22:23], v[24:25], v[22:23]
	;; [unrolled: 5-line block ×4, first 2 shown]
	v_mul_f64_e32 v[24:25], s[42:43], v[136:137]
	scratch_store_b64 off, v[24:25], off offset:652 ; 8-byte Folded Spill
	v_fma_f64 v[24:25], v[151:152], s[10:11], v[24:25]
	s_delay_alu instid0(VALU_DEP_1) | instskip(SKIP_1) | instid1(VALU_DEP_1)
	v_add_f64_e32 v[20:21], v[24:25], v[20:21]
	v_fma_f64 v[24:25], v[159:160], s[10:11], -v[179:180]
	v_add_f64_e32 v[22:23], v[24:25], v[22:23]
	v_fma_f64 v[24:25], v[130:131], s[20:21], v[233:234]
	s_delay_alu instid0(VALU_DEP_1) | instskip(NEXT) | instid1(VALU_DEP_1)
	v_add_f64_e32 v[24:25], v[32:33], v[24:25]
	v_add_f64_e32 v[24:25], v[26:27], v[24:25]
	v_fma_f64 v[26:27], v[163:164], s[20:21], -v[241:242]
	s_delay_alu instid0(VALU_DEP_1) | instskip(NEXT) | instid1(VALU_DEP_1)
	v_add_f64_e32 v[26:27], v[34:35], v[26:27]
	v_add_f64_e32 v[26:27], v[116:117], v[26:27]
	v_mul_f64_e32 v[116:117], s[28:29], v[108:109]
	v_mul_f64_e32 v[108:109], s[36:37], v[249:250]
	;; [unrolled: 1-line block ×3, first 2 shown]
	scratch_store_b64 off, v[116:117], off offset:628 ; 8-byte Folded Spill
	v_fma_f64 v[116:117], v[110:111], s[14:15], v[116:117]
	s_delay_alu instid0(VALU_DEP_1) | instskip(SKIP_1) | instid1(VALU_DEP_1)
	v_add_f64_e32 v[24:25], v[116:117], v[24:25]
	v_fma_f64 v[116:117], v[118:119], s[14:15], -v[187:188]
	v_add_f64_e32 v[26:27], v[116:117], v[26:27]
	v_mul_f64_e32 v[116:117], s[52:53], v[237:238]
	v_mul_f64_e32 v[237:238], s[46:47], v[237:238]
	scratch_store_b64 off, v[116:117], off offset:644 ; 8-byte Folded Spill
	v_fma_f64 v[116:117], v[114:115], s[18:19], v[116:117]
	global_wb scope:SCOPE_SE
	s_wait_storecnt 0x0
	s_barrier_signal -1
	s_barrier_wait -1
	global_inv scope:SCOPE_SE
	v_add_f64_e32 v[24:25], v[116:117], v[24:25]
	v_fma_f64 v[116:117], v[126:127], s[18:19], -v[201:202]
	s_delay_alu instid0(VALU_DEP_1) | instskip(SKIP_1) | instid1(VALU_DEP_1)
	v_add_f64_e32 v[26:27], v[116:117], v[26:27]
	v_fma_f64 v[116:117], v[122:123], s[0:1], v[193:194]
	v_add_f64_e32 v[24:25], v[116:117], v[24:25]
	v_fma_f64 v[116:117], v[138:139], s[0:1], -v[209:210]
	s_delay_alu instid0(VALU_DEP_1) | instskip(SKIP_1) | instid1(VALU_DEP_1)
	v_add_f64_e32 v[26:27], v[116:117], v[26:27]
	v_fma_f64 v[116:117], v[134:135], s[22:23], v[207:208]
	;; [unrolled: 5-line block ×4, first 2 shown]
	v_add_f64_e32 v[24:25], v[116:117], v[24:25]
	v_fma_f64 v[116:117], v[159:160], s[16:17], -v[197:198]
	s_delay_alu instid0(VALU_DEP_1) | instskip(SKIP_1) | instid1(VALU_DEP_1)
	v_add_f64_e32 v[26:27], v[116:117], v[26:27]
	v_mul_f64_e32 v[116:117], s[40:41], v[28:29]
	v_fma_f64 v[28:29], v[130:131], s[22:23], v[116:117]
	s_delay_alu instid0(VALU_DEP_1) | instskip(NEXT) | instid1(VALU_DEP_1)
	v_add_f64_e32 v[28:29], v[32:33], v[28:29]
	v_add_f64_e32 v[28:29], v[30:31], v[28:29]
	v_fma_f64 v[30:31], v[163:164], s[22:23], -v[120:121]
	s_delay_alu instid0(VALU_DEP_1) | instskip(NEXT) | instid1(VALU_DEP_1)
	v_add_f64_e32 v[30:31], v[34:35], v[30:31]
	v_add_f64_e32 v[30:31], v[100:101], v[30:31]
	v_fma_f64 v[100:101], v[110:111], s[20:21], v[235:236]
	s_delay_alu instid0(VALU_DEP_1) | instskip(SKIP_1) | instid1(VALU_DEP_1)
	v_add_f64_e32 v[28:29], v[100:101], v[28:29]
	v_fma_f64 v[100:101], v[118:119], s[20:21], -v[247:248]
	v_add_f64_e32 v[30:31], v[100:101], v[30:31]
	v_fma_f64 v[100:101], v[114:115], s[6:7], v[237:238]
	s_delay_alu instid0(VALU_DEP_1) | instskip(SKIP_1) | instid1(VALU_DEP_1)
	v_add_f64_e32 v[28:29], v[100:101], v[28:29]
	v_fma_f64 v[100:101], v[126:127], s[6:7], -v[104:105]
	;; [unrolled: 5-line block ×4, first 2 shown]
	v_add_f64_e32 v[30:31], v[100:101], v[30:31]
	v_fma_f64 v[100:101], v[143:144], s[16:17], v[245:246]
	s_delay_alu instid0(VALU_DEP_1) | instskip(SKIP_1) | instid1(VALU_DEP_1)
	v_add_f64_e32 v[28:29], v[100:101], v[28:29]
	v_mul_f64_e32 v[100:101], s[30:31], v[132:133]
	v_fma_f64 v[124:125], v[155:156], s[16:17], -v[100:101]
	s_delay_alu instid0(VALU_DEP_1) | instskip(SKIP_1) | instid1(VALU_DEP_1)
	v_add_f64_e32 v[30:31], v[124:125], v[30:31]
	v_fma_f64 v[124:125], v[151:152], s[14:15], v[243:244]
	v_add_f64_e32 v[28:29], v[124:125], v[28:29]
	v_fma_f64 v[124:125], v[159:160], s[14:15], -v[249:250]
	s_delay_alu instid0(VALU_DEP_1)
	v_add_f64_e32 v[30:31], v[124:125], v[30:31]
	scratch_load_b32 v124, off, off         ; 4-byte Folded Reload
	s_wait_loadcnt 0x0
	v_mul_lo_u16 v124, v124, 17
	scratch_store_b32 off, v124, off offset:16 ; 4-byte Folded Spill
	s_and_saveexec_b32 s24, vcc_lo
	s_cbranch_execz .LBB0_7
; %bb.6:
	v_add_f64_e32 v[54:55], v[34:35], v[54:55]
	v_add_f64_e32 v[52:53], v[32:33], v[52:53]
	s_delay_alu instid0(VALU_DEP_2) | instskip(NEXT) | instid1(VALU_DEP_2)
	v_add_f64_e32 v[54:55], v[54:55], v[58:59]
	v_add_f64_e32 v[52:53], v[52:53], v[56:57]
	v_mul_f64_e32 v[56:57], s[14:15], v[163:164]
	v_mul_f64_e32 v[58:59], s[14:15], v[130:131]
	s_delay_alu instid0(VALU_DEP_4) | instskip(NEXT) | instid1(VALU_DEP_4)
	v_add_f64_e32 v[54:55], v[54:55], v[62:63]
	v_add_f64_e32 v[52:53], v[52:53], v[60:61]
	s_delay_alu instid0(VALU_DEP_4)
	v_add_f64_e32 v[56:57], v[221:222], v[56:57]
	v_mul_f64_e32 v[62:63], s[10:11], v[130:131]
	v_mul_f64_e32 v[60:61], s[10:11], v[163:164]
	v_add_f64_e64 v[58:59], v[58:59], -v[219:220]
	v_add_f64_e32 v[54:55], v[54:55], v[66:67]
	v_add_f64_e32 v[52:53], v[52:53], v[64:65]
	v_mul_f64_e32 v[66:67], s[6:7], v[130:131]
	v_mul_f64_e32 v[64:65], s[6:7], v[163:164]
	v_add_f64_e64 v[62:63], v[62:63], -v[215:216]
	v_add_f64_e32 v[60:61], v[217:218], v[60:61]
	v_add_f64_e32 v[54:55], v[54:55], v[70:71]
	;; [unrolled: 1-line block ×3, first 2 shown]
	s_clause 0x1
	scratch_load_b64 v[68:69], off, off offset:588 th:TH_LOAD_LU
	scratch_load_b64 v[70:71], off, off offset:188 th:TH_LOAD_LU
	v_add_f64_e32 v[64:65], v[153:154], v[64:65]
	v_add_f64_e32 v[54:55], v[54:55], v[74:75]
	;; [unrolled: 1-line block ×3, first 2 shown]
	s_delay_alu instid0(VALU_DEP_2) | instskip(NEXT) | instid1(VALU_DEP_2)
	v_add_f64_e32 v[54:55], v[54:55], v[78:79]
	v_add_f64_e32 v[52:53], v[52:53], v[76:77]
	s_delay_alu instid0(VALU_DEP_2) | instskip(NEXT) | instid1(VALU_DEP_2)
	v_add_f64_e32 v[54:55], v[54:55], v[86:87]
	v_add_f64_e32 v[52:53], v[52:53], v[84:85]
	v_mul_f64_e32 v[84:85], s[20:21], v[110:111]
	scratch_load_b64 v[86:87], off, off offset:204 th:TH_LOAD_LU ; 8-byte Folded Reload
	v_add_f64_e32 v[54:55], v[54:55], v[90:91]
	v_add_f64_e32 v[52:53], v[52:53], v[88:89]
	v_add_f64_e64 v[84:85], v[84:85], -v[235:236]
	s_delay_alu instid0(VALU_DEP_3) | instskip(NEXT) | instid1(VALU_DEP_3)
	v_add_f64_e32 v[54:55], v[54:55], v[94:95]
	v_add_f64_e32 v[52:53], v[52:53], v[92:93]
	s_delay_alu instid0(VALU_DEP_2) | instskip(NEXT) | instid1(VALU_DEP_2)
	v_add_f64_e32 v[54:55], v[54:55], v[98:99]
	v_add_f64_e32 v[52:53], v[52:53], v[96:97]
	s_delay_alu instid0(VALU_DEP_2) | instskip(SKIP_1) | instid1(VALU_DEP_3)
	v_add_f64_e32 v[54:55], v[54:55], v[82:83]
	v_mul_f64_e32 v[82:83], s[0:1], v[102:103]
	v_add_f64_e32 v[52:53], v[52:53], v[80:81]
	v_mul_f64_e32 v[80:81], s[18:19], v[122:123]
	s_delay_alu instid0(VALU_DEP_4) | instskip(NEXT) | instid1(VALU_DEP_4)
	v_add_f64_e32 v[50:51], v[54:55], v[50:51]
	v_add_f64_e64 v[82:83], v[82:83], -v[231:232]
	s_delay_alu instid0(VALU_DEP_4)
	v_add_f64_e32 v[48:49], v[52:53], v[48:49]
	v_mul_f64_e32 v[52:53], s[16:17], v[163:164]
	v_mul_f64_e32 v[54:55], s[16:17], v[130:131]
	v_add_f64_e64 v[80:81], v[80:81], -v[251:252]
	s_wait_loadcnt 0x2
	v_add_f64_e64 v[66:67], v[66:67], -v[68:69]
	v_mul_f64_e32 v[68:69], s[0:1], v[163:164]
	v_add_f64_e32 v[46:47], v[50:51], v[46:47]
	v_mul_f64_e32 v[50:51], s[18:19], v[130:131]
	v_add_f64_e32 v[44:45], v[48:49], v[44:45]
	;; [unrolled: 2-line block ×3, first 2 shown]
	v_add_f64_e64 v[54:55], v[54:55], -v[223:224]
	v_add_f64_e32 v[42:43], v[46:47], v[42:43]
	v_mul_f64_e32 v[46:47], s[20:21], v[130:131]
	v_add_f64_e32 v[40:41], v[44:45], v[40:41]
	v_add_f64_e32 v[48:49], v[229:230], v[48:49]
	v_mul_f64_e32 v[44:45], s[20:21], v[163:164]
	v_add_f64_e64 v[50:51], v[50:51], -v[227:228]
	v_add_f64_e32 v[52:53], v[34:35], v[52:53]
	v_add_f64_e32 v[54:55], v[32:33], v[54:55]
	;; [unrolled: 1-line block ×3, first 2 shown]
	v_mul_f64_e32 v[42:43], s[22:23], v[130:131]
	v_add_f64_e32 v[36:37], v[40:41], v[36:37]
	v_mul_f64_e32 v[40:41], s[22:23], v[163:164]
	v_add_f64_e64 v[46:47], v[46:47], -v[233:234]
	v_add_f64_e32 v[76:77], v[34:35], v[48:49]
	v_add_f64_e32 v[48:49], v[34:35], v[56:57]
	;; [unrolled: 1-line block ×7, first 2 shown]
	v_add_f64_e64 v[42:43], v[42:43], -v[116:117]
	v_add_f64_e32 v[40:41], v[120:121], v[40:41]
	v_add_f64_e32 v[74:75], v[32:33], v[46:47]
	;; [unrolled: 1-line block ×3, first 2 shown]
	v_mul_f64_e32 v[62:63], s[20:21], v[118:119]
	v_add_f64_e32 v[42:43], v[32:33], v[42:43]
	v_add_f64_e32 v[40:41], v[34:35], v[40:41]
	s_delay_alu instid0(VALU_DEP_3) | instskip(NEXT) | instid1(VALU_DEP_3)
	v_add_f64_e32 v[62:63], v[247:248], v[62:63]
	v_add_f64_e32 v[42:43], v[82:83], v[42:43]
	s_delay_alu instid0(VALU_DEP_1)
	v_add_f64_e32 v[42:43], v[84:85], v[42:43]
	s_clause 0x1
	scratch_load_b64 v[84:85], off, off offset:196 th:TH_LOAD_LU
	scratch_load_b64 v[72:73], off, off offset:108 th:TH_LOAD_LU
	s_wait_loadcnt 0x3
	v_add_f64_e32 v[68:69], v[70:71], v[68:69]
	v_mul_f64_e32 v[70:71], s[0:1], v[130:131]
	s_delay_alu instid0(VALU_DEP_2) | instskip(SKIP_1) | instid1(VALU_DEP_1)
	v_add_f64_e32 v[64:65], v[34:35], v[68:69]
	v_mul_f64_e32 v[68:69], s[0:1], v[106:107]
	v_add_f64_e32 v[68:69], v[239:240], v[68:69]
	s_delay_alu instid0(VALU_DEP_1) | instskip(SKIP_1) | instid1(VALU_DEP_2)
	v_add_f64_e32 v[40:41], v[68:69], v[40:41]
	v_mul_f64_e32 v[68:69], s[6:7], v[114:115]
	v_add_f64_e32 v[40:41], v[62:63], v[40:41]
	s_delay_alu instid0(VALU_DEP_2) | instskip(SKIP_1) | instid1(VALU_DEP_2)
	v_add_f64_e64 v[68:69], v[68:69], -v[237:238]
	v_mul_f64_e32 v[62:63], s[16:17], v[155:156]
	v_add_f64_e32 v[42:43], v[68:69], v[42:43]
	s_delay_alu instid0(VALU_DEP_2)
	v_add_f64_e32 v[62:63], v[100:101], v[62:63]
	scratch_load_b64 v[68:69], off, off offset:236 th:TH_LOAD_LU ; 8-byte Folded Reload
	s_wait_loadcnt 0x1
	v_add_f64_e64 v[70:71], v[70:71], -v[72:73]
	v_add_f64_e32 v[72:73], v[34:35], v[44:45]
	v_add_f64_e32 v[44:45], v[34:35], v[60:61]
	v_mul_f64_e32 v[60:61], s[6:7], v[126:127]
	v_mul_f64_e32 v[34:35], s[18:19], v[138:139]
	v_add_f64_e32 v[66:67], v[32:33], v[70:71]
	v_mul_f64_e32 v[32:33], s[10:11], v[147:148]
	v_mul_f64_e32 v[70:71], s[10:11], v[134:135]
	v_add_f64_e32 v[60:61], v[104:105], v[60:61]
	v_add_f64_e32 v[34:35], v[108:109], v[34:35]
	s_delay_alu instid0(VALU_DEP_4) | instskip(NEXT) | instid1(VALU_DEP_4)
	v_add_f64_e32 v[32:33], v[112:113], v[32:33]
	v_add_f64_e64 v[70:71], v[70:71], -v[253:254]
	s_delay_alu instid0(VALU_DEP_4) | instskip(SKIP_1) | instid1(VALU_DEP_2)
	v_add_f64_e32 v[40:41], v[60:61], v[40:41]
	v_mul_f64_e32 v[60:61], s[16:17], v[143:144]
	v_add_f64_e32 v[34:35], v[34:35], v[40:41]
	v_add_f64_e32 v[40:41], v[80:81], v[42:43]
	scratch_load_b64 v[80:81], off, off offset:268 th:TH_LOAD_LU ; 8-byte Folded Reload
	v_mul_f64_e32 v[42:43], s[14:15], v[159:160]
	v_add_f64_e64 v[60:61], v[60:61], -v[245:246]
	scratch_load_b64 v[82:83], off, off offset:228 th:TH_LOAD_LU ; 8-byte Folded Reload
	v_add_f64_e32 v[32:33], v[32:33], v[34:35]
	v_add_f64_e32 v[34:35], v[70:71], v[40:41]
	v_mul_f64_e32 v[40:41], s[14:15], v[151:152]
	v_add_f64_e32 v[42:43], v[249:250], v[42:43]
	scratch_load_b64 v[70:71], off, off offset:220 th:TH_LOAD_LU ; 8-byte Folded Reload
	v_add_f64_e32 v[32:33], v[62:63], v[32:33]
	v_add_f64_e32 v[60:61], v[60:61], v[34:35]
	v_add_f64_e64 v[40:41], v[40:41], -v[243:244]
	scratch_load_b64 v[62:63], off, off offset:276 th:TH_LOAD_LU ; 8-byte Folded Reload
	v_add_f64_e32 v[34:35], v[42:43], v[32:33]
	scratch_load_b64 v[42:43], off, off offset:356 th:TH_LOAD_LU ; 8-byte Folded Reload
	v_add_f64_e32 v[32:33], v[40:41], v[60:61]
	scratch_load_b64 v[60:61], off, off offset:308 th:TH_LOAD_LU ; 8-byte Folded Reload
	v_mul_f64_e32 v[40:41], s[16:17], v[147:148]
	s_wait_loadcnt 0x1
	s_delay_alu instid0(VALU_DEP_1) | instskip(SKIP_2) | instid1(VALU_DEP_1)
	v_add_f64_e32 v[40:41], v[42:43], v[40:41]
	v_mul_f64_e32 v[42:43], s[20:21], v[138:139]
	s_wait_loadcnt 0x0
	v_add_f64_e32 v[42:43], v[60:61], v[42:43]
	v_mul_f64_e32 v[60:61], s[22:23], v[126:127]
	s_delay_alu instid0(VALU_DEP_1) | instskip(SKIP_1) | instid1(VALU_DEP_1)
	v_add_f64_e32 v[60:61], v[62:63], v[60:61]
	v_mul_f64_e32 v[62:63], s[18:19], v[118:119]
	v_add_f64_e32 v[62:63], v[68:69], v[62:63]
	v_mul_f64_e32 v[68:69], s[14:15], v[106:107]
	s_delay_alu instid0(VALU_DEP_1) | instskip(SKIP_1) | instid1(VALU_DEP_2)
	v_add_f64_e32 v[68:69], v[70:71], v[68:69]
	v_mul_f64_e32 v[70:71], s[20:21], v[122:123]
	v_add_f64_e32 v[56:57], v[68:69], v[56:57]
	s_delay_alu instid0(VALU_DEP_2) | instskip(SKIP_2) | instid1(VALU_DEP_4)
	v_add_f64_e64 v[70:71], v[70:71], -v[80:81]
	v_mul_f64_e32 v[80:81], s[22:23], v[114:115]
	v_mul_f64_e32 v[68:69], s[16:17], v[134:135]
	v_add_f64_e32 v[56:57], v[62:63], v[56:57]
	v_mul_f64_e32 v[62:63], s[10:11], v[155:156]
	s_delay_alu instid0(VALU_DEP_4) | instskip(SKIP_1) | instid1(VALU_DEP_4)
	v_add_f64_e64 v[80:81], v[80:81], -v[82:83]
	v_mul_f64_e32 v[82:83], s[14:15], v[102:103]
	v_add_f64_e32 v[56:57], v[60:61], v[56:57]
	v_mul_f64_e32 v[60:61], s[10:11], v[143:144]
	s_delay_alu instid0(VALU_DEP_3) | instskip(SKIP_1) | instid1(VALU_DEP_4)
	v_add_f64_e64 v[82:83], v[82:83], -v[84:85]
	v_mul_f64_e32 v[84:85], s[18:19], v[110:111]
	v_add_f64_e32 v[42:43], v[42:43], v[56:57]
	s_delay_alu instid0(VALU_DEP_3) | instskip(NEXT) | instid1(VALU_DEP_3)
	v_add_f64_e32 v[58:59], v[82:83], v[58:59]
	v_add_f64_e64 v[84:85], v[84:85], -v[86:87]
	s_clause 0x1
	scratch_load_b64 v[82:83], off, off offset:252 th:TH_LOAD_LU
	scratch_load_b64 v[86:87], off, off offset:300 th:TH_LOAD_LU
	v_add_f64_e32 v[40:41], v[40:41], v[42:43]
	v_add_f64_e32 v[58:59], v[84:85], v[58:59]
	scratch_load_b64 v[84:85], off, off offset:284 th:TH_LOAD_LU ; 8-byte Folded Reload
	v_add_f64_e32 v[58:59], v[80:81], v[58:59]
	scratch_load_b64 v[80:81], off, off offset:260 th:TH_LOAD_LU ; 8-byte Folded Reload
	;; [unrolled: 2-line block ×3, first 2 shown]
	v_mul_f64_e32 v[58:59], s[0:1], v[159:160]
	s_wait_loadcnt 0x4
	v_add_f64_e64 v[68:69], v[68:69], -v[82:83]
	scratch_load_b64 v[82:83], off, off offset:316 th:TH_LOAD_LU ; 8-byte Folded Reload
	v_add_f64_e32 v[42:43], v[68:69], v[56:57]
	v_mul_f64_e32 v[56:57], s[0:1], v[151:152]
	s_wait_loadcnt 0x2
	v_add_f64_e64 v[60:61], v[60:61], -v[80:81]
	scratch_load_b64 v[80:81], off, off offset:516 th:TH_LOAD_LU ; 8-byte Folded Reload
	s_wait_loadcnt 0x2
	v_add_f64_e32 v[58:59], v[70:71], v[58:59]
	s_clause 0x1
	scratch_load_b64 v[70:71], off, off offset:332 th:TH_LOAD_LU
	scratch_load_b64 v[68:69], off, off offset:292 th:TH_LOAD_LU
	v_add_f64_e32 v[60:61], v[60:61], v[42:43]
	s_wait_loadcnt 0x3
	v_add_f64_e32 v[62:63], v[82:83], v[62:63]
	scratch_load_b64 v[82:83], off, off offset:420 th:TH_LOAD_LU ; 8-byte Folded Reload
	v_add_f64_e32 v[40:41], v[62:63], v[40:41]
	scratch_load_b64 v[62:63], off, off offset:428 th:TH_LOAD_LU ; 8-byte Folded Reload
	v_add_f64_e32 v[42:43], v[58:59], v[40:41]
	v_mul_f64_e32 v[58:59], s[6:7], v[138:139]
	s_wait_loadcnt 0x2
	v_add_f64_e64 v[56:57], v[56:57], -v[68:69]
	scratch_load_b64 v[68:69], off, off offset:364 th:TH_LOAD_LU ; 8-byte Folded Reload
	v_add_f64_e32 v[40:41], v[56:57], v[60:61]
	scratch_load_b64 v[60:61], off, off offset:548 th:TH_LOAD_LU ; 8-byte Folded Reload
	v_mul_f64_e32 v[56:57], s[0:1], v[147:148]
	s_delay_alu instid0(VALU_DEP_1) | instskip(SKIP_3) | instid1(VALU_DEP_1)
	v_add_f64_e32 v[56:57], v[165:166], v[56:57]
	s_wait_loadcnt 0x0
	v_add_f64_e32 v[58:59], v[60:61], v[58:59]
	v_mul_f64_e32 v[60:61], s[16:17], v[126:127]
	v_add_f64_e32 v[60:61], v[62:63], v[60:61]
	v_mul_f64_e32 v[62:63], s[22:23], v[118:119]
	s_delay_alu instid0(VALU_DEP_1) | instskip(SKIP_1) | instid1(VALU_DEP_1)
	v_add_f64_e32 v[62:63], v[68:69], v[62:63]
	v_mul_f64_e32 v[68:69], s[18:19], v[106:107]
	v_add_f64_e32 v[68:69], v[70:71], v[68:69]
	v_mul_f64_e32 v[70:71], s[0:1], v[134:135]
	s_delay_alu instid0(VALU_DEP_2) | instskip(NEXT) | instid1(VALU_DEP_2)
	v_add_f64_e32 v[44:45], v[68:69], v[44:45]
	v_add_f64_e64 v[70:71], v[70:71], -v[80:81]
	v_mul_f64_e32 v[80:81], s[6:7], v[122:123]
	v_mul_f64_e32 v[68:69], s[16:17], v[114:115]
	s_delay_alu instid0(VALU_DEP_4) | instskip(SKIP_1) | instid1(VALU_DEP_4)
	v_add_f64_e32 v[44:45], v[62:63], v[44:45]
	v_mul_f64_e32 v[62:63], s[14:15], v[155:156]
	v_add_f64_e64 v[80:81], v[80:81], -v[82:83]
	v_mul_f64_e32 v[82:83], s[18:19], v[102:103]
	s_delay_alu instid0(VALU_DEP_4) | instskip(SKIP_1) | instid1(VALU_DEP_3)
	v_add_f64_e32 v[44:45], v[60:61], v[44:45]
	v_mul_f64_e32 v[60:61], s[14:15], v[143:144]
	v_add_f64_e64 v[82:83], v[82:83], -v[84:85]
	v_mul_f64_e32 v[84:85], s[22:23], v[110:111]
	s_delay_alu instid0(VALU_DEP_4) | instskip(SKIP_1) | instid1(VALU_DEP_4)
	v_add_f64_e32 v[44:45], v[58:59], v[44:45]
	v_mul_f64_e32 v[58:59], s[20:21], v[159:160]
	v_add_f64_e32 v[46:47], v[82:83], v[46:47]
	scratch_load_b64 v[82:83], off, off offset:324 th:TH_LOAD_LU ; 8-byte Folded Reload
	v_add_f64_e64 v[84:85], v[84:85], -v[86:87]
	scratch_load_b64 v[86:87], off, off offset:372 th:TH_LOAD_LU ; 8-byte Folded Reload
	v_add_f64_e32 v[44:45], v[56:57], v[44:45]
	v_mul_f64_e32 v[56:57], s[20:21], v[151:152]
	v_add_f64_e32 v[46:47], v[84:85], v[46:47]
	scratch_load_b64 v[84:85], off, off offset:340 th:TH_LOAD_LU ; 8-byte Folded Reload
	s_wait_loadcnt 0x2
	v_add_f64_e64 v[68:69], v[68:69], -v[82:83]
	scratch_load_b64 v[82:83], off, off offset:468 th:TH_LOAD_LU ; 8-byte Folded Reload
	v_add_f64_e32 v[46:47], v[68:69], v[46:47]
	scratch_load_b64 v[68:69], off, off offset:412 th:TH_LOAD_LU ; 8-byte Folded Reload
	v_add_f64_e32 v[46:47], v[80:81], v[46:47]
	;; [unrolled: 2-line block ×3, first 2 shown]
	scratch_load_b64 v[70:71], off, off offset:404 th:TH_LOAD_LU ; 8-byte Folded Reload
	s_wait_loadcnt 0x3
	v_add_f64_e32 v[62:63], v[82:83], v[62:63]
	scratch_load_b64 v[82:83], off, off offset:508 th:TH_LOAD_LU ; 8-byte Folded Reload
	s_wait_loadcnt 0x3
	v_add_f64_e64 v[60:61], v[60:61], -v[68:69]
	scratch_load_b64 v[68:69], off, off offset:460 th:TH_LOAD_LU ; 8-byte Folded Reload
	v_add_f64_e32 v[44:45], v[62:63], v[44:45]
	scratch_load_b64 v[62:63], off, off offset:564 th:TH_LOAD_LU ; 8-byte Folded Reload
	v_add_f64_e32 v[60:61], v[60:61], v[46:47]
	s_wait_loadcnt 0x1
	v_add_f64_e32 v[58:59], v[68:69], v[58:59]
	scratch_load_b64 v[68:69], off, off offset:396 th:TH_LOAD_LU ; 8-byte Folded Reload
	v_add_f64_e32 v[46:47], v[58:59], v[44:45]
	v_mul_f64_e32 v[58:59], s[10:11], v[138:139]
	s_delay_alu instid0(VALU_DEP_1)
	v_add_f64_e32 v[58:59], v[145:146], v[58:59]
	s_wait_loadcnt 0x0
	v_add_f64_e64 v[56:57], v[56:57], -v[68:69]
	scratch_load_b64 v[68:69], off, off offset:484 th:TH_LOAD_LU ; 8-byte Folded Reload
	v_add_f64_e32 v[44:45], v[56:57], v[60:61]
	v_mul_f64_e32 v[60:61], s[0:1], v[126:127]
	v_mul_f64_e32 v[56:57], s[20:21], v[147:148]
	s_delay_alu instid0(VALU_DEP_2) | instskip(SKIP_1) | instid1(VALU_DEP_3)
	v_add_f64_e32 v[60:61], v[62:63], v[60:61]
	v_mul_f64_e32 v[62:63], s[16:17], v[118:119]
	v_add_f64_e32 v[56:57], v[181:182], v[56:57]
	s_wait_loadcnt 0x0
	s_delay_alu instid0(VALU_DEP_2) | instskip(SKIP_1) | instid1(VALU_DEP_1)
	v_add_f64_e32 v[62:63], v[68:69], v[62:63]
	v_mul_f64_e32 v[68:69], s[22:23], v[106:107]
	v_add_f64_e32 v[68:69], v[70:71], v[68:69]
	v_mul_f64_e32 v[70:71], s[20:21], v[134:135]
	s_delay_alu instid0(VALU_DEP_2) | instskip(NEXT) | instid1(VALU_DEP_2)
	v_add_f64_e32 v[48:49], v[68:69], v[48:49]
	v_add_f64_e64 v[70:71], v[70:71], -v[80:81]
	v_mul_f64_e32 v[80:81], s[10:11], v[122:123]
	v_mul_f64_e32 v[68:69], s[0:1], v[114:115]
	s_delay_alu instid0(VALU_DEP_4) | instskip(SKIP_1) | instid1(VALU_DEP_4)
	v_add_f64_e32 v[48:49], v[62:63], v[48:49]
	v_mul_f64_e32 v[62:63], s[18:19], v[155:156]
	v_add_f64_e64 v[80:81], v[80:81], -v[82:83]
	v_mul_f64_e32 v[82:83], s[22:23], v[102:103]
	s_delay_alu instid0(VALU_DEP_4) | instskip(SKIP_1) | instid1(VALU_DEP_3)
	v_add_f64_e32 v[48:49], v[60:61], v[48:49]
	v_mul_f64_e32 v[60:61], s[18:19], v[143:144]
	v_add_f64_e64 v[82:83], v[82:83], -v[84:85]
	v_mul_f64_e32 v[84:85], s[16:17], v[110:111]
	s_delay_alu instid0(VALU_DEP_4) | instskip(SKIP_1) | instid1(VALU_DEP_4)
	v_add_f64_e32 v[48:49], v[58:59], v[48:49]
	v_mul_f64_e32 v[58:59], s[6:7], v[159:160]
	v_add_f64_e32 v[50:51], v[82:83], v[50:51]
	scratch_load_b64 v[82:83], off, off offset:388 th:TH_LOAD_LU ; 8-byte Folded Reload
	v_add_f64_e64 v[84:85], v[84:85], -v[86:87]
	scratch_load_b64 v[86:87], off, off offset:436 th:TH_LOAD_LU ; 8-byte Folded Reload
	v_add_f64_e32 v[48:49], v[56:57], v[48:49]
	v_mul_f64_e32 v[56:57], s[6:7], v[151:152]
	v_add_f64_e32 v[50:51], v[84:85], v[50:51]
	scratch_load_b64 v[84:85], off, off offset:380 th:TH_LOAD_LU ; 8-byte Folded Reload
	s_wait_loadcnt 0x2
	v_add_f64_e64 v[68:69], v[68:69], -v[82:83]
	scratch_load_b64 v[82:83], off, off offset:572 th:TH_LOAD_LU ; 8-byte Folded Reload
	v_add_f64_e32 v[50:51], v[68:69], v[50:51]
	scratch_load_b64 v[68:69], off, off offset:500 th:TH_LOAD_LU ; 8-byte Folded Reload
	v_add_f64_e32 v[50:51], v[80:81], v[50:51]
	v_mul_f64_e32 v[80:81], s[22:23], v[122:123]
	s_delay_alu instid0(VALU_DEP_2)
	v_add_f64_e32 v[50:51], v[70:71], v[50:51]
	scratch_load_b64 v[70:71], off, off offset:492 th:TH_LOAD_LU ; 8-byte Folded Reload
	s_wait_loadcnt 0x2
	v_add_f64_e32 v[62:63], v[82:83], v[62:63]
	scratch_load_b64 v[82:83], off, off offset:636 th:TH_LOAD_LU ; 8-byte Folded Reload
	v_add_f64_e32 v[48:49], v[62:63], v[48:49]
	v_mul_f64_e32 v[62:63], s[6:7], v[118:119]
	s_wait_loadcnt 0x0
	v_add_f64_e64 v[80:81], v[80:81], -v[82:83]
	v_mul_f64_e32 v[82:83], s[20:21], v[102:103]
	s_delay_alu instid0(VALU_DEP_1) | instskip(SKIP_1) | instid1(VALU_DEP_2)
	v_add_f64_e64 v[82:83], v[82:83], -v[84:85]
	v_mul_f64_e32 v[84:85], s[6:7], v[110:111]
	v_add_f64_e32 v[54:55], v[82:83], v[54:55]
	s_delay_alu instid0(VALU_DEP_2)
	v_add_f64_e64 v[84:85], v[84:85], -v[86:87]
	scratch_load_b64 v[86:87], off, off offset:532 th:TH_LOAD_LU ; 8-byte Folded Reload
	v_add_f64_e64 v[60:61], v[60:61], -v[68:69]
	s_clause 0x1
	scratch_load_b64 v[68:69], off, off offset:556 th:TH_LOAD_LU
	scratch_load_b64 v[82:83], off, off offset:452 th:TH_LOAD_LU
	v_add_f64_e32 v[54:55], v[84:85], v[54:55]
	scratch_load_b64 v[84:85], off, off offset:444 th:TH_LOAD_LU ; 8-byte Folded Reload
	v_add_f64_e32 v[60:61], v[60:61], v[50:51]
	s_wait_loadcnt 0x2
	v_add_f64_e32 v[58:59], v[68:69], v[58:59]
	scratch_load_b64 v[68:69], off, off offset:476 th:TH_LOAD_LU ; 8-byte Folded Reload
	v_add_f64_e32 v[50:51], v[58:59], v[48:49]
	v_mul_f64_e32 v[58:59], s[22:23], v[138:139]
	s_delay_alu instid0(VALU_DEP_1)
	v_add_f64_e32 v[58:59], v[189:190], v[58:59]
	s_wait_loadcnt 0x0
	v_add_f64_e64 v[56:57], v[56:57], -v[68:69]
	scratch_load_b64 v[68:69], off, off offset:596 th:TH_LOAD_LU ; 8-byte Folded Reload
	v_add_f64_e32 v[48:49], v[56:57], v[60:61]
	v_mul_f64_e32 v[60:61], s[10:11], v[126:127]
	v_mul_f64_e32 v[56:57], s[14:15], v[147:148]
	s_delay_alu instid0(VALU_DEP_2) | instskip(NEXT) | instid1(VALU_DEP_2)
	v_add_f64_e32 v[60:61], v[161:162], v[60:61]
	v_add_f64_e32 v[56:57], v[205:206], v[56:57]
	s_wait_loadcnt 0x0
	v_add_f64_e32 v[62:63], v[68:69], v[62:63]
	v_mul_f64_e32 v[68:69], s[20:21], v[106:107]
	s_delay_alu instid0(VALU_DEP_1) | instskip(SKIP_1) | instid1(VALU_DEP_2)
	v_add_f64_e32 v[68:69], v[70:71], v[68:69]
	v_mul_f64_e32 v[70:71], s[14:15], v[134:135]
	v_add_f64_e32 v[52:53], v[68:69], v[52:53]
	v_mul_f64_e32 v[68:69], s[10:11], v[114:115]
	s_delay_alu instid0(VALU_DEP_3) | instskip(NEXT) | instid1(VALU_DEP_3)
	v_add_f64_e64 v[70:71], v[70:71], -v[175:176]
	v_add_f64_e32 v[52:53], v[62:63], v[52:53]
	s_delay_alu instid0(VALU_DEP_3) | instskip(SKIP_2) | instid1(VALU_DEP_4)
	v_add_f64_e64 v[68:69], v[68:69], -v[82:83]
	v_mul_f64_e32 v[82:83], s[16:17], v[102:103]
	v_mul_f64_e32 v[62:63], s[0:1], v[155:156]
	v_add_f64_e32 v[52:53], v[60:61], v[52:53]
	s_delay_alu instid0(VALU_DEP_4)
	v_add_f64_e32 v[54:55], v[68:69], v[54:55]
	scratch_load_b64 v[68:69], off, off offset:612 th:TH_LOAD_LU ; 8-byte Folded Reload
	v_mul_f64_e32 v[60:61], s[0:1], v[143:144]
	v_add_f64_e64 v[82:83], v[82:83], -v[84:85]
	v_add_f64_e32 v[62:63], v[167:168], v[62:63]
	v_mul_f64_e32 v[84:85], s[0:1], v[110:111]
	v_add_f64_e32 v[52:53], v[58:59], v[52:53]
	v_add_f64_e32 v[54:55], v[80:81], v[54:55]
	v_mul_f64_e32 v[58:59], s[18:19], v[159:160]
	v_mul_f64_e32 v[80:81], s[14:15], v[122:123]
	v_add_f64_e64 v[84:85], v[84:85], -v[86:87]
	scratch_load_b64 v[86:87], off, off offset:628 th:TH_LOAD_LU ; 8-byte Folded Reload
	v_add_f64_e32 v[52:53], v[56:57], v[52:53]
	v_add_f64_e32 v[54:55], v[70:71], v[54:55]
	scratch_load_b64 v[70:71], off, off offset:604 th:TH_LOAD_LU ; 8-byte Folded Reload
	v_mul_f64_e32 v[56:57], s[18:19], v[151:152]
	v_add_f64_e32 v[58:59], v[149:150], v[58:59]
	v_add_f64_e64 v[80:81], v[80:81], -v[173:174]
	v_add_f64_e32 v[52:53], v[62:63], v[52:53]
	v_mul_f64_e32 v[62:63], s[0:1], v[118:119]
	s_delay_alu instid0(VALU_DEP_1)
	v_add_f64_e32 v[62:63], v[171:172], v[62:63]
	s_wait_loadcnt 0x2
	v_add_f64_e64 v[60:61], v[60:61], -v[68:69]
	scratch_load_b64 v[68:69], off, off offset:580 th:TH_LOAD_LU ; 8-byte Folded Reload
	v_add_f64_e32 v[60:61], v[60:61], v[54:55]
	v_add_f64_e32 v[54:55], v[58:59], v[52:53]
	v_mul_f64_e32 v[58:59], s[14:15], v[138:139]
	s_delay_alu instid0(VALU_DEP_1) | instskip(SKIP_3) | instid1(VALU_DEP_2)
	v_add_f64_e32 v[58:59], v[203:204], v[58:59]
	s_wait_loadcnt 0x0
	v_add_f64_e64 v[56:57], v[56:57], -v[68:69]
	v_mul_f64_e32 v[68:69], s[16:17], v[106:107]
	v_add_f64_e32 v[52:53], v[56:57], v[60:61]
	s_delay_alu instid0(VALU_DEP_2) | instskip(SKIP_3) | instid1(VALU_DEP_4)
	v_add_f64_e32 v[68:69], v[70:71], v[68:69]
	v_mul_f64_e32 v[60:61], s[20:21], v[126:127]
	v_mul_f64_e32 v[56:57], s[6:7], v[147:148]
	;; [unrolled: 1-line block ×3, first 2 shown]
	v_add_f64_e32 v[68:69], v[68:69], v[76:77]
	v_add_f64_e32 v[76:77], v[82:83], v[78:79]
	scratch_load_b64 v[82:83], off, off offset:540 th:TH_LOAD_LU ; 8-byte Folded Reload
	v_mul_f64_e32 v[78:79], s[20:21], v[114:115]
	v_add_f64_e32 v[60:61], v[191:192], v[60:61]
	v_add_f64_e32 v[56:57], v[211:212], v[56:57]
	v_add_f64_e64 v[70:71], v[70:71], -v[195:196]
	v_add_f64_e32 v[62:63], v[62:63], v[68:69]
	v_add_f64_e32 v[68:69], v[84:85], v[76:77]
	scratch_load_b64 v[84:85], off, off offset:524 th:TH_LOAD_LU ; 8-byte Folded Reload
	v_mul_f64_e32 v[76:77], s[22:23], v[155:156]
	v_add_f64_e32 v[60:61], v[60:61], v[62:63]
	s_delay_alu instid0(VALU_DEP_2) | instskip(NEXT) | instid1(VALU_DEP_2)
	v_add_f64_e32 v[76:77], v[183:184], v[76:77]
	v_add_f64_e32 v[58:59], v[58:59], v[60:61]
	s_delay_alu instid0(VALU_DEP_1) | instskip(NEXT) | instid1(VALU_DEP_1)
	v_add_f64_e32 v[56:57], v[56:57], v[58:59]
	v_add_f64_e32 v[56:57], v[76:77], v[56:57]
	v_mul_f64_e32 v[76:77], s[10:11], v[106:107]
	s_delay_alu instid0(VALU_DEP_1) | instskip(NEXT) | instid1(VALU_DEP_1)
	v_add_f64_e32 v[76:77], v[157:158], v[76:77]
	v_add_f64_e32 v[72:73], v[76:77], v[72:73]
	v_mul_f64_e32 v[76:77], s[18:19], v[114:115]
	s_wait_loadcnt 0x1
	v_add_f64_e64 v[78:79], v[78:79], -v[82:83]
	v_mul_f64_e32 v[82:83], s[10:11], v[102:103]
	s_delay_alu instid0(VALU_DEP_2) | instskip(SKIP_1) | instid1(VALU_DEP_2)
	v_add_f64_e32 v[62:63], v[78:79], v[68:69]
	s_wait_loadcnt 0x0
	v_add_f64_e64 v[82:83], v[82:83], -v[84:85]
	v_mul_f64_e32 v[68:69], s[22:23], v[143:144]
	v_mul_f64_e32 v[84:85], s[14:15], v[110:111]
	;; [unrolled: 1-line block ×3, first 2 shown]
	v_add_f64_e32 v[60:61], v[80:81], v[62:63]
	v_add_f64_e32 v[74:75], v[82:83], v[74:75]
	scratch_load_b64 v[82:83], off, off offset:644 th:TH_LOAD_LU ; 8-byte Folded Reload
	v_add_f64_e64 v[68:69], v[68:69], -v[169:170]
	v_mul_f64_e32 v[62:63], s[10:11], v[159:160]
	v_add_f64_e64 v[84:85], v[84:85], -v[86:87]
	scratch_load_b64 v[86:87], off, off offset:148 th:TH_LOAD_LU ; 8-byte Folded Reload
	v_mul_f64_e32 v[80:81], s[0:1], v[122:123]
	v_add_f64_e64 v[78:79], v[78:79], -v[207:208]
	v_add_f64_e32 v[58:59], v[70:71], v[60:61]
	scratch_load_b64 v[70:71], off, off offset:652 th:TH_LOAD_LU ; 8-byte Folded Reload
	v_mul_f64_e32 v[60:61], s[10:11], v[151:152]
	v_add_f64_e32 v[62:63], v[179:180], v[62:63]
	v_add_f64_e64 v[80:81], v[80:81], -v[193:194]
	v_add_f64_e32 v[68:69], v[68:69], v[58:59]
	s_delay_alu instid0(VALU_DEP_3) | instskip(SKIP_1) | instid1(VALU_DEP_1)
	v_add_f64_e32 v[58:59], v[62:63], v[56:57]
	v_mul_f64_e32 v[62:63], s[0:1], v[138:139]
	v_add_f64_e32 v[62:63], v[209:210], v[62:63]
	s_wait_loadcnt 0x2
	v_add_f64_e64 v[76:77], v[76:77], -v[82:83]
	scratch_load_b64 v[82:83], off, off offset:60 th:TH_LOAD_LU ; 8-byte Folded Reload
	s_wait_loadcnt 0x1
	v_add_f64_e64 v[60:61], v[60:61], -v[70:71]
	v_mul_f64_e32 v[70:71], s[14:15], v[118:119]
	s_delay_alu instid0(VALU_DEP_2) | instskip(SKIP_1) | instid1(VALU_DEP_3)
	v_add_f64_e32 v[56:57], v[60:61], v[68:69]
	v_mul_f64_e32 v[68:69], s[18:19], v[126:127]
	v_add_f64_e32 v[70:71], v[187:188], v[70:71]
	v_mul_f64_e32 v[60:61], s[22:23], v[147:148]
	s_delay_alu instid0(VALU_DEP_3) | instskip(NEXT) | instid1(VALU_DEP_3)
	v_add_f64_e32 v[68:69], v[201:202], v[68:69]
	v_add_f64_e32 v[70:71], v[70:71], v[72:73]
	;; [unrolled: 1-line block ×3, first 2 shown]
	s_delay_alu instid0(VALU_DEP_4)
	v_add_f64_e32 v[60:61], v[213:214], v[60:61]
	v_mul_f64_e32 v[74:75], s[6:7], v[155:156]
	scratch_load_b64 v[84:85], off, off offset:76 th:TH_LOAD_LU ; 8-byte Folded Reload
	v_add_f64_e32 v[68:69], v[68:69], v[70:71]
	v_add_f64_e32 v[70:71], v[76:77], v[72:73]
	v_mul_f64_e32 v[72:73], s[6:7], v[143:144]
	v_add_f64_e32 v[74:75], v[199:200], v[74:75]
	scratch_load_b64 v[76:77], off, off offset:36 th:TH_LOAD_LU ; 8-byte Folded Reload
	v_add_f64_e32 v[62:63], v[62:63], v[68:69]
	v_add_f64_e32 v[68:69], v[80:81], v[70:71]
	scratch_load_b64 v[80:81], off, off offset:52 th:TH_LOAD_LU ; 8-byte Folded Reload
	v_mul_f64_e32 v[70:71], s[16:17], v[159:160]
	v_add_f64_e64 v[72:73], v[72:73], -v[185:186]
	v_add_f64_e32 v[60:61], v[60:61], v[62:63]
	v_add_f64_e32 v[62:63], v[78:79], v[68:69]
	v_mul_f64_e32 v[68:69], s[16:17], v[151:152]
	v_add_f64_e32 v[70:71], v[197:198], v[70:71]
	scratch_load_b64 v[78:79], off, off offset:20 th:TH_LOAD_LU ; 8-byte Folded Reload
	v_add_f64_e32 v[60:61], v[74:75], v[60:61]
	v_add_f64_e32 v[72:73], v[72:73], v[62:63]
	v_add_f64_e64 v[68:69], v[68:69], -v[177:178]
	scratch_load_b64 v[74:75], off, off offset:68 th:TH_LOAD_LU ; 8-byte Folded Reload
	v_add_f64_e32 v[62:63], v[70:71], v[60:61]
	scratch_load_b64 v[70:71], off, off offset:132 th:TH_LOAD_LU ; 8-byte Folded Reload
	v_add_f64_e32 v[60:61], v[68:69], v[72:73]
	scratch_load_b64 v[72:73], off, off offset:92 th:TH_LOAD_LU ; 8-byte Folded Reload
	v_mul_f64_e32 v[68:69], s[16:17], v[138:139]
	s_wait_loadcnt 0x1
	s_delay_alu instid0(VALU_DEP_1) | instskip(SKIP_2) | instid1(VALU_DEP_1)
	v_add_f64_e32 v[68:69], v[70:71], v[68:69]
	v_mul_f64_e32 v[70:71], s[14:15], v[126:127]
	s_wait_loadcnt 0x0
	v_add_f64_e32 v[70:71], v[72:73], v[70:71]
	v_mul_f64_e32 v[72:73], s[10:11], v[118:119]
	s_delay_alu instid0(VALU_DEP_1) | instskip(SKIP_1) | instid1(VALU_DEP_1)
	v_add_f64_e32 v[72:73], v[74:75], v[72:73]
	v_mul_f64_e32 v[74:75], s[6:7], v[106:107]
	v_add_f64_e32 v[74:75], v[76:77], v[74:75]
	v_mul_f64_e32 v[76:77], s[6:7], v[102:103]
	s_delay_alu instid0(VALU_DEP_2) | instskip(NEXT) | instid1(VALU_DEP_2)
	v_add_f64_e32 v[64:65], v[74:75], v[64:65]
	v_add_f64_e64 v[76:77], v[76:77], -v[78:79]
	v_mul_f64_e32 v[74:75], s[18:19], v[134:135]
	v_mul_f64_e32 v[78:79], s[10:11], v[110:111]
	s_delay_alu instid0(VALU_DEP_4) | instskip(NEXT) | instid1(VALU_DEP_4)
	v_add_f64_e32 v[64:65], v[72:73], v[64:65]
	v_add_f64_e32 v[66:67], v[76:77], v[66:67]
	scratch_load_b64 v[76:77], off, off offset:124 th:TH_LOAD_LU ; 8-byte Folded Reload
	v_mul_f64_e32 v[72:73], s[20:21], v[155:156]
	v_add_f64_e64 v[78:79], v[78:79], -v[80:81]
	v_mul_f64_e32 v[80:81], s[14:15], v[114:115]
	v_add_f64_e32 v[64:65], v[70:71], v[64:65]
	v_mul_f64_e32 v[70:71], s[20:21], v[143:144]
	s_delay_alu instid0(VALU_DEP_4) | instskip(NEXT) | instid1(VALU_DEP_4)
	v_add_f64_e32 v[66:67], v[78:79], v[66:67]
	v_add_f64_e64 v[80:81], v[80:81], -v[82:83]
	v_mul_f64_e32 v[82:83], s[16:17], v[122:123]
	v_add_f64_e32 v[64:65], v[68:69], v[64:65]
	v_mul_f64_e32 v[68:69], s[22:23], v[159:160]
	s_delay_alu instid0(VALU_DEP_4) | instskip(NEXT) | instid1(VALU_DEP_4)
	v_add_f64_e32 v[66:67], v[80:81], v[66:67]
	v_add_f64_e64 v[82:83], v[82:83], -v[84:85]
	v_mul_f64_e32 v[84:85], s[18:19], v[147:148]
	s_delay_alu instid0(VALU_DEP_2) | instskip(NEXT) | instid1(VALU_DEP_2)
	v_add_f64_e32 v[66:67], v[82:83], v[66:67]
	v_add_f64_e32 v[84:85], v[86:87], v[84:85]
	s_delay_alu instid0(VALU_DEP_1)
	v_add_f64_e32 v[64:65], v[84:85], v[64:65]
	s_wait_loadcnt 0x0
	v_add_f64_e64 v[74:75], v[74:75], -v[76:77]
	scratch_load_b64 v[76:77], off, off offset:172 th:TH_LOAD_LU ; 8-byte Folded Reload
	v_add_f64_e32 v[66:67], v[74:75], v[66:67]
	v_mul_f64_e32 v[74:75], s[22:23], v[151:152]
	s_wait_loadcnt 0x0
	v_add_f64_e32 v[72:73], v[76:77], v[72:73]
	scratch_load_b64 v[76:77], off, off offset:140 th:TH_LOAD_LU ; 8-byte Folded Reload
	v_add_f64_e32 v[64:65], v[72:73], v[64:65]
	s_wait_loadcnt 0x0
	v_add_f64_e64 v[70:71], v[70:71], -v[76:77]
	scratch_load_b64 v[76:77], off, off offset:180 th:TH_LOAD_LU ; 8-byte Folded Reload
	v_add_f64_e32 v[70:71], v[70:71], v[66:67]
	s_wait_loadcnt 0x0
	v_add_f64_e32 v[68:69], v[76:77], v[68:69]
	scratch_load_b64 v[76:77], off, off offset:156 th:TH_LOAD_LU ; 8-byte Folded Reload
	v_add_f64_e32 v[66:67], v[68:69], v[64:65]
	scratch_load_b32 v68, off, off offset:16 ; 4-byte Folded Reload
	s_wait_loadcnt 0x1
	v_add_f64_e64 v[74:75], v[74:75], -v[76:77]
	s_delay_alu instid0(VALU_DEP_1) | instskip(SKIP_2) | instid1(VALU_DEP_1)
	v_add_f64_e32 v[64:65], v[74:75], v[70:71]
	s_wait_loadcnt 0x0
	v_and_b32_e32 v68, 0xffff, v68
	v_add_lshl_u32 v68, v140, v68, 4
	ds_store_b128 v68, v[40:43] offset:32
	ds_store_b128 v68, v[24:27] offset:160
	;; [unrolled: 1-line block ×15, first 2 shown]
	ds_store_b128 v68, v[36:39]
	ds_store_b128 v68, v[0:3] offset:256
.LBB0_7:
	s_wait_alu 0xfffe
	s_or_b32 exec_lo, exec_lo, s24
	scratch_load_b32 v41, off, off          ; 4-byte Folded Reload
	s_load_b128 s[0:3], s[2:3], 0x0
	global_wb scope:SCOPE_SE
	s_wait_storecnt 0x0
	s_wait_loadcnt_dscnt 0x0
	s_wait_kmcnt 0x0
	s_barrier_signal -1
	s_barrier_wait -1
	global_inv scope:SCOPE_SE
	s_mov_b32 s6, 0xe8584caa
	s_mov_b32 s7, 0x3febb67a
	;; [unrolled: 1-line block ×3, first 2 shown]
	s_wait_alu 0xfffe
	s_mov_b32 s10, s6
	s_mov_b32 s15, 0x3fe491b7
	;; [unrolled: 1-line block ×5, first 2 shown]
	v_and_b32_e32 v32, 0xff, v41
	v_add_nc_u16 v33, v41, 51
	v_add_nc_u16 v34, v41, 0x66
	v_add_lshl_u32 v142, v140, v41, 4
	s_delay_alu instid0(VALU_DEP_4) | instskip(NEXT) | instid1(VALU_DEP_4)
	v_mul_lo_u16 v32, 0xf1, v32
	v_and_b32_e32 v35, 0xff, v33
	s_delay_alu instid0(VALU_DEP_4) | instskip(NEXT) | instid1(VALU_DEP_3)
	v_and_b32_e32 v36, 0xff, v34
	v_lshrrev_b16 v32, 12, v32
	s_delay_alu instid0(VALU_DEP_3) | instskip(NEXT) | instid1(VALU_DEP_3)
	v_mul_lo_u16 v35, 0xf1, v35
	v_mul_lo_u16 v36, 0xf1, v36
	s_delay_alu instid0(VALU_DEP_3) | instskip(NEXT) | instid1(VALU_DEP_3)
	v_mul_lo_u16 v37, v32, 17
	v_lshrrev_b16 v35, 12, v35
	s_delay_alu instid0(VALU_DEP_3) | instskip(NEXT) | instid1(VALU_DEP_3)
	v_lshrrev_b16 v36, 12, v36
	v_sub_nc_u16 v37, v41, v37
	s_delay_alu instid0(VALU_DEP_3) | instskip(NEXT) | instid1(VALU_DEP_3)
	v_mul_lo_u16 v38, v35, 17
	v_mul_lo_u16 v40, v36, 17
	v_and_b32_e32 v35, 0xffff, v35
	v_and_b32_e32 v36, 0xffff, v36
	v_lshlrev_b16 v39, 1, v37
	v_sub_nc_u16 v33, v33, v38
	v_sub_nc_u16 v34, v34, v40
	v_mad_u16 v32, v32, 51, v37
	v_mul_u32_u24_e32 v35, 51, v35
	v_and_b32_e32 v38, 0xfe, v39
	v_and_b32_e32 v33, 0xff, v33
	;; [unrolled: 1-line block ×4, first 2 shown]
	v_mul_u32_u24_e32 v36, 51, v36
	v_lshlrev_b32_e32 v38, 4, v38
	v_lshlrev_b32_e32 v39, 5, v33
	;; [unrolled: 1-line block ×3, first 2 shown]
	v_add_lshl_u32 v233, v140, v32, 4
	v_add_nc_u32_e32 v32, v35, v33
	s_clause 0x1
	global_load_b128 v[211:214], v38, s[4:5]
	global_load_b128 v[207:210], v38, s[4:5] offset:16
	v_lshlrev_b32_e32 v38, 5, v34
	v_add_nc_u32_e32 v33, v36, v34
	s_clause 0x3
	global_load_b128 v[203:206], v39, s[4:5]
	global_load_b128 v[52:55], v39, s[4:5] offset:16
	global_load_b128 v[215:218], v38, s[4:5]
	global_load_b128 v[143:146], v38, s[4:5] offset:16
	ds_load_b128 v[56:59], v142 offset:2448
	ds_load_b128 v[60:63], v142 offset:4896
	;; [unrolled: 1-line block ×7, first 2 shown]
	v_add_lshl_u32 v232, v140, v32, 4
	v_add_lshl_u32 v231, v140, v33, 4
	s_wait_loadcnt_dscnt 0x506
	v_mul_f64_e32 v[84:85], v[58:59], v[213:214]
	s_wait_loadcnt_dscnt 0x405
	v_mul_f64_e32 v[86:87], v[62:63], v[209:210]
	v_mul_f64_e32 v[88:89], v[56:57], v[213:214]
	v_mul_f64_e32 v[90:91], v[60:61], v[209:210]
	s_wait_loadcnt_dscnt 0x304
	v_mul_f64_e32 v[92:93], v[66:67], v[205:206]
	s_wait_loadcnt_dscnt 0x203
	v_mul_f64_e32 v[94:95], v[70:71], v[54:55]
	v_mul_f64_e32 v[96:97], v[64:65], v[205:206]
	v_mul_f64_e32 v[98:99], v[68:69], v[54:55]
	;; [unrolled: 6-line block ×3, first 2 shown]
	v_fma_f64 v[84:85], v[56:57], v[211:212], -v[84:85]
	v_fma_f64 v[86:87], v[60:61], v[207:208], -v[86:87]
	v_fma_f64 v[88:89], v[58:59], v[211:212], v[88:89]
	v_fma_f64 v[90:91], v[62:63], v[207:208], v[90:91]
	v_fma_f64 v[64:65], v[64:65], v[203:204], -v[92:93]
	v_fma_f64 v[68:69], v[68:69], v[52:53], -v[94:95]
	v_fma_f64 v[66:67], v[66:67], v[203:204], v[96:97]
	v_fma_f64 v[70:71], v[70:71], v[52:53], v[98:99]
	;; [unrolled: 4-line block ×3, first 2 shown]
	ds_load_b128 v[56:59], v142
	ds_load_b128 v[60:63], v142 offset:816
	global_wb scope:SCOPE_SE
	s_wait_dscnt 0x0
	s_barrier_signal -1
	s_barrier_wait -1
	global_inv scope:SCOPE_SE
	v_add_f64_e32 v[104:105], v[56:57], v[84:85]
	v_add_f64_e32 v[92:93], v[84:85], v[86:87]
	v_add_f64_e64 v[84:85], v[84:85], -v[86:87]
	v_add_f64_e32 v[94:95], v[88:89], v[90:91]
	v_add_f64_e64 v[106:107], v[88:89], -v[90:91]
	v_add_f64_e32 v[96:97], v[64:65], v[68:69]
	v_add_f64_e32 v[88:89], v[58:59], v[88:89]
	;; [unrolled: 1-line block ×9, first 2 shown]
	v_add_f64_e64 v[116:117], v[66:67], -v[70:71]
	v_add_f64_e64 v[118:119], v[64:65], -v[68:69]
	;; [unrolled: 1-line block ×4, first 2 shown]
	v_fma_f64 v[92:93], v[92:93], -0.5, v[56:57]
	v_add_f64_e32 v[56:57], v[104:105], v[86:87]
	v_fma_f64 v[94:95], v[94:95], -0.5, v[58:59]
	v_fma_f64 v[96:97], v[96:97], -0.5, v[60:61]
	v_add_f64_e32 v[58:59], v[88:89], v[90:91]
	v_fma_f64 v[98:99], v[98:99], -0.5, v[62:63]
	v_add_f64_e32 v[60:61], v[108:109], v[68:69]
	;; [unrolled: 2-line block ×4, first 2 shown]
	v_add_f64_e32 v[66:67], v[114:115], v[78:79]
	v_fma_f64 v[68:69], v[106:107], s[6:7], v[92:93]
	s_wait_alu 0xfffe
	v_fma_f64 v[72:73], v[106:107], s[10:11], v[92:93]
	v_fma_f64 v[70:71], v[84:85], s[10:11], v[94:95]
	;; [unrolled: 1-line block ×11, first 2 shown]
	s_mov_b32 s6, 0xe8584cab
	ds_store_b128 v233, v[56:59]
	ds_store_b128 v233, v[68:71] offset:272
	ds_store_b128 v233, v[72:75] offset:544
	ds_store_b128 v232, v[60:63]
	ds_store_b128 v232, v[76:79] offset:272
	ds_store_b128 v232, v[80:83] offset:544
	;; [unrolled: 3-line block ×3, first 2 shown]
	global_wb scope:SCOPE_SE
	s_wait_dscnt 0x0
	s_barrier_signal -1
	s_barrier_wait -1
	global_inv scope:SCOPE_SE
	s_clause 0x7
	global_load_b128 v[76:79], v37, s[4:5] offset:544
	global_load_b128 v[84:87], v37, s[4:5] offset:656
	;; [unrolled: 1-line block ×8, first 2 shown]
	ds_load_b128 v[88:91], v142 offset:816
	ds_load_b128 v[92:95], v142 offset:6528
	;; [unrolled: 1-line block ×7, first 2 shown]
	scratch_load_b32 v32, off, off offset:4 ; 4-byte Folded Reload
	s_mov_b32 s4, 0x8c811c17
	s_mov_b32 s5, 0x3fef838b
	s_wait_alu 0xfffe
	s_mov_b32 s10, s6
	s_wait_loadcnt_dscnt 0x806
	v_mul_f64_e32 v[116:117], v[90:91], v[78:79]
	v_mul_f64_e32 v[118:119], v[88:89], v[78:79]
	s_wait_loadcnt_dscnt 0x705
	v_mul_f64_e32 v[120:121], v[94:95], v[86:87]
	v_mul_f64_e32 v[122:123], v[92:93], v[86:87]
	;; [unrolled: 3-line block ×6, first 2 shown]
	s_wait_loadcnt 0x0
	v_lshl_add_u32 v140, v41, 4, v32
	v_lshl_add_u32 v141, v41, 4, v32
	v_fma_f64 v[116:117], v[88:89], v[76:77], -v[116:117]
	v_fma_f64 v[118:119], v[90:91], v[76:77], v[118:119]
	v_fma_f64 v[92:93], v[92:93], v[84:85], -v[120:121]
	v_fma_f64 v[94:95], v[94:95], v[84:85], v[122:123]
	;; [unrolled: 2-line block ×6, first 2 shown]
	ds_load_b128 v[88:91], v142 offset:4896
	ds_load_b128 v[108:111], v142
	s_wait_dscnt 0x2
	v_mul_f64_e32 v[124:125], v[114:115], v[74:75]
	v_mul_f64_e32 v[126:127], v[112:113], v[74:75]
	s_wait_dscnt 0x1
	v_mul_f64_e32 v[128:129], v[90:91], v[70:71]
	v_mul_f64_e32 v[130:131], v[88:89], v[70:71]
	v_add_f64_e64 v[132:133], v[116:117], -v[92:93]
	v_add_f64_e64 v[134:135], v[118:119], -v[94:95]
	v_add_f64_e32 v[92:93], v[116:117], v[92:93]
	v_add_f64_e32 v[94:95], v[118:119], v[94:95]
	;; [unrolled: 1-line block ×4, first 2 shown]
	v_add_f64_e64 v[138:139], v[96:97], -v[100:101]
	v_add_f64_e64 v[147:148], v[98:99], -v[102:103]
	v_add_f64_e32 v[149:150], v[104:105], v[120:121]
	v_add_f64_e32 v[151:152], v[106:107], v[122:123]
	v_add_f64_e64 v[104:105], v[104:105], -v[120:121]
	v_add_f64_e64 v[106:107], v[106:107], -v[122:123]
	v_fma_f64 v[112:113], v[112:113], v[72:73], -v[124:125]
	v_fma_f64 v[114:115], v[114:115], v[72:73], v[126:127]
	v_fma_f64 v[88:89], v[88:89], v[68:69], -v[128:129]
	v_fma_f64 v[90:91], v[90:91], v[68:69], v[130:131]
	v_mul_f64_e32 v[118:119], s[14:15], v[132:133]
	v_mul_f64_e32 v[120:121], s[14:15], v[134:135]
	s_mov_b32 s15, 0xbfe491b7
	s_wait_dscnt 0x0
	v_fma_f64 v[122:123], v[92:93], s[16:17], v[108:109]
	v_fma_f64 v[124:125], v[116:117], s[16:17], v[108:109]
	;; [unrolled: 1-line block ×3, first 2 shown]
	v_mul_f64_e32 v[128:129], s[4:5], v[138:139]
	v_mul_f64_e32 v[130:131], s[4:5], v[147:148]
	v_fma_f64 v[153:154], v[149:150], s[16:17], v[108:109]
	v_fma_f64 v[155:156], v[151:152], s[16:17], v[110:111]
	s_wait_alu 0xfffe
	v_mul_f64_e32 v[157:158], s[14:15], v[147:148]
	v_mul_f64_e32 v[159:160], s[14:15], v[138:139]
	v_fma_f64 v[161:162], v[94:95], s[16:17], v[110:111]
	s_mov_b32 s16, 0x7e0b738b
	s_mov_b32 s17, 0x3fc63a1a
	v_add_f64_e32 v[167:168], v[149:150], v[92:93]
	v_add_f64_e32 v[169:170], v[151:152], v[94:95]
	;; [unrolled: 1-line block ×4, first 2 shown]
	v_add_f64_e64 v[88:89], v[112:113], -v[88:89]
	v_add_f64_e64 v[90:91], v[114:115], -v[90:91]
	v_fma_f64 v[112:113], v[104:105], s[4:5], v[118:119]
	v_fma_f64 v[114:115], v[106:107], s[4:5], v[120:121]
	s_wait_alu 0xfffe
	v_fma_f64 v[118:119], v[149:150], s[16:17], v[122:123]
	v_fma_f64 v[120:121], v[92:93], s[16:17], v[124:125]
	;; [unrolled: 1-line block ×3, first 2 shown]
	v_fma_f64 v[124:125], v[104:105], s[14:15], -v[128:129]
	v_fma_f64 v[126:127], v[106:107], s[14:15], -v[130:131]
	v_fma_f64 v[128:129], v[116:117], s[16:17], v[153:154]
	v_fma_f64 v[130:131], v[136:137], s[16:17], v[155:156]
	;; [unrolled: 1-line block ×5, first 2 shown]
	v_add_f64_e32 v[159:160], v[138:139], v[132:133]
	v_add_f64_e32 v[161:162], v[147:148], v[134:135]
	;; [unrolled: 1-line block ×4, first 2 shown]
	s_mov_b32 s4, 0x748a0bf8
	s_mov_b32 s14, 0x42522d1b
	;; [unrolled: 1-line block ×4, first 2 shown]
	v_add_f64_e32 v[171:172], v[108:109], v[163:164]
	v_add_f64_e32 v[173:174], v[110:111], v[165:166]
	;; [unrolled: 1-line block ×4, first 2 shown]
	v_fma_f64 v[112:113], v[88:89], s[6:7], v[112:113]
	v_fma_f64 v[114:115], v[90:91], s[6:7], v[114:115]
	v_fma_f64 v[118:119], v[163:164], -0.5, v[118:119]
	v_fma_f64 v[120:121], v[163:164], -0.5, v[120:121]
	;; [unrolled: 1-line block ×3, first 2 shown]
	v_fma_f64 v[124:125], v[88:89], s[6:7], v[124:125]
	v_fma_f64 v[126:127], v[90:91], s[6:7], v[126:127]
	v_fma_f64 v[128:129], v[163:164], -0.5, v[128:129]
	v_fma_f64 v[130:131], v[165:166], -0.5, v[130:131]
	v_fma_f64 v[90:91], v[90:91], s[10:11], v[153:154]
	v_fma_f64 v[88:89], v[88:89], s[10:11], v[155:156]
	v_fma_f64 v[153:154], v[165:166], -0.5, v[157:158]
	v_add_f64_e64 v[155:156], v[159:160], -v[104:105]
	v_add_f64_e64 v[157:158], v[161:162], -v[106:107]
	v_fma_f64 v[159:160], v[175:176], -0.5, v[171:172]
	v_fma_f64 v[161:162], v[177:178], -0.5, v[173:174]
	v_add_f64_e32 v[96:97], v[96:97], v[167:168]
	v_add_f64_e32 v[98:99], v[98:99], v[169:170]
	s_wait_alu 0xfffe
	v_fma_f64 v[138:139], v[138:139], s[4:5], v[112:113]
	v_fma_f64 v[147:148], v[147:148], s[4:5], v[114:115]
	;; [unrolled: 1-line block ×12, first 2 shown]
	v_mul_f64_e32 v[128:129], s[6:7], v[155:156]
	v_mul_f64_e32 v[130:131], s[6:7], v[157:158]
	v_add_f64_e32 v[90:91], v[100:101], v[96:97]
	v_add_f64_e32 v[132:133], v[102:103], v[98:99]
	v_fma_f64 v[100:101], v[157:158], s[6:7], v[159:160]
	v_fma_f64 v[102:103], v[155:156], s[10:11], v[161:162]
	v_add_f64_e32 v[92:93], v[147:148], v[112:113]
	v_add_f64_e32 v[104:105], v[122:123], v[120:121]
	v_add_f64_e64 v[106:107], v[94:95], -v[118:119]
	v_add_f64_e32 v[96:97], v[124:125], v[114:115]
	v_add_f64_e64 v[98:99], v[116:117], -v[126:127]
	v_add_f64_e64 v[94:95], v[88:89], -v[138:139]
	v_add_f64_e32 v[88:89], v[108:109], v[90:91]
	v_add_f64_e32 v[90:91], v[110:111], v[132:133]
	v_fma_f64 v[112:113], v[130:131], -2.0, v[100:101]
	v_fma_f64 v[114:115], v[128:129], 2.0, v[102:103]
	v_fma_f64 v[120:121], v[147:148], -2.0, v[92:93]
	v_fma_f64 v[108:109], v[122:123], -2.0, v[104:105]
	v_fma_f64 v[110:111], v[118:119], 2.0, v[106:107]
	v_fma_f64 v[116:117], v[124:125], -2.0, v[96:97]
	v_fma_f64 v[118:119], v[126:127], 2.0, v[98:99]
	v_fma_f64 v[122:123], v[138:139], 2.0, v[94:95]
	ds_store_b128 v140, v[88:91]
	ds_store_b128 v141, v[100:103] offset:2448
	ds_store_b128 v141, v[104:107] offset:3264
	ds_store_b128 v141, v[92:95] offset:816
	ds_store_b128 v141, v[96:99] offset:1632
	ds_store_b128 v141, v[108:111] offset:4080
	ds_store_b128 v141, v[112:115] offset:4896
	ds_store_b128 v141, v[116:119] offset:5712
	ds_store_b128 v141, v[120:123] offset:6528
	global_wb scope:SCOPE_SE
	s_wait_dscnt 0x0
	s_barrier_signal -1
	s_barrier_wait -1
	global_inv scope:SCOPE_SE
	s_and_saveexec_b32 s6, vcc_lo
	s_cbranch_execz .LBB0_9
; %bb.8:
	global_load_b128 v[136:139], v255, s[8:9] offset:7344
	s_add_nc_u64 s[4:5], s[8:9], 0x1cb0
	s_clause 0x6
	global_load_b128 v[124:127], v255, s[4:5] offset:432
	global_load_b128 v[128:131], v255, s[4:5] offset:864
	;; [unrolled: 1-line block ×7, first 2 shown]
	ds_load_b128 v[163:166], v140
	s_clause 0x1
	global_load_b128 v[167:170], v255, s[4:5] offset:3456
	global_load_b128 v[171:174], v255, s[4:5] offset:3888
	s_wait_loadcnt_dscnt 0x900
	v_mul_f64_e32 v[175:176], v[165:166], v[138:139]
	v_mul_f64_e32 v[138:139], v[163:164], v[138:139]
	s_delay_alu instid0(VALU_DEP_2) | instskip(NEXT) | instid1(VALU_DEP_2)
	v_fma_f64 v[163:164], v[163:164], v[136:137], -v[175:176]
	v_fma_f64 v[165:166], v[165:166], v[136:137], v[138:139]
	s_clause 0x1
	global_load_b128 v[136:139], v255, s[4:5] offset:4320
	global_load_b128 v[175:178], v255, s[4:5] offset:4752
	ds_store_b128 v140, v[163:166]
	ds_load_b128 v[163:166], v141 offset:432
	ds_load_b128 v[179:182], v141 offset:864
	s_wait_loadcnt_dscnt 0xa01
	v_mul_f64_e32 v[183:184], v[165:166], v[126:127]
	v_mul_f64_e32 v[126:127], v[163:164], v[126:127]
	s_wait_loadcnt_dscnt 0x900
	v_mul_f64_e32 v[187:188], v[181:182], v[130:131]
	v_mul_f64_e32 v[130:131], v[179:180], v[130:131]
	s_delay_alu instid0(VALU_DEP_4) | instskip(NEXT) | instid1(VALU_DEP_4)
	v_fma_f64 v[163:164], v[163:164], v[124:125], -v[183:184]
	v_fma_f64 v[165:166], v[165:166], v[124:125], v[126:127]
	ds_load_b128 v[124:127], v141 offset:1296
	ds_load_b128 v[183:186], v141 offset:1728
	v_fma_f64 v[179:180], v[179:180], v[128:129], -v[187:188]
	v_fma_f64 v[181:182], v[181:182], v[128:129], v[130:131]
	s_wait_loadcnt_dscnt 0x801
	v_mul_f64_e32 v[189:190], v[126:127], v[134:135]
	v_mul_f64_e32 v[128:129], v[124:125], v[134:135]
	s_wait_loadcnt_dscnt 0x700
	v_mul_f64_e32 v[187:188], v[185:186], v[149:150]
	v_mul_f64_e32 v[149:150], v[183:184], v[149:150]
	s_delay_alu instid0(VALU_DEP_4) | instskip(NEXT) | instid1(VALU_DEP_4)
	v_fma_f64 v[124:125], v[124:125], v[132:133], -v[189:190]
	v_fma_f64 v[126:127], v[126:127], v[132:133], v[128:129]
	ds_load_b128 v[128:131], v141 offset:2160
	ds_load_b128 v[132:135], v141 offset:2592
	v_fma_f64 v[183:184], v[183:184], v[147:148], -v[187:188]
	v_fma_f64 v[185:186], v[185:186], v[147:148], v[149:150]
	;; [unrolled: 13-line block ×4, first 2 shown]
	s_wait_loadcnt_dscnt 0x201
	v_mul_f64_e32 v[189:190], v[157:158], v[173:174]
	v_mul_f64_e32 v[167:168], v[155:156], v[173:174]
	s_wait_loadcnt_dscnt 0x100
	v_mul_f64_e32 v[187:188], v[161:162], v[138:139]
	v_mul_f64_e32 v[138:139], v[159:160], v[138:139]
	s_delay_alu instid0(VALU_DEP_4) | instskip(NEXT) | instid1(VALU_DEP_4)
	v_fma_f64 v[155:156], v[155:156], v[171:172], -v[189:190]
	v_fma_f64 v[157:158], v[157:158], v[171:172], v[167:168]
	ds_load_b128 v[171:174], v141 offset:4752
	global_load_b128 v[167:170], v255, s[4:5] offset:5184
	v_fma_f64 v[159:160], v[159:160], v[136:137], -v[187:188]
	v_fma_f64 v[161:162], v[161:162], v[136:137], v[138:139]
	ds_load_b128 v[136:139], v141 offset:5184
	s_wait_loadcnt_dscnt 0x101
	v_mul_f64_e32 v[187:188], v[173:174], v[177:178]
	v_mul_f64_e32 v[177:178], v[171:172], v[177:178]
	s_delay_alu instid0(VALU_DEP_2) | instskip(NEXT) | instid1(VALU_DEP_2)
	v_fma_f64 v[171:172], v[171:172], v[175:176], -v[187:188]
	v_fma_f64 v[173:174], v[173:174], v[175:176], v[177:178]
	global_load_b128 v[175:178], v255, s[4:5] offset:5616
	s_wait_loadcnt_dscnt 0x100
	v_mul_f64_e32 v[187:188], v[138:139], v[169:170]
	v_mul_f64_e32 v[169:170], v[136:137], v[169:170]
	s_delay_alu instid0(VALU_DEP_2) | instskip(NEXT) | instid1(VALU_DEP_2)
	v_fma_f64 v[136:137], v[136:137], v[167:168], -v[187:188]
	v_fma_f64 v[138:139], v[138:139], v[167:168], v[169:170]
	ds_load_b128 v[167:170], v141 offset:5616
	ds_load_b128 v[187:190], v141 offset:6048
	s_wait_loadcnt_dscnt 0x1
	v_mul_f64_e32 v[191:192], v[169:170], v[177:178]
	v_mul_f64_e32 v[177:178], v[167:168], v[177:178]
	s_delay_alu instid0(VALU_DEP_2) | instskip(NEXT) | instid1(VALU_DEP_2)
	v_fma_f64 v[167:168], v[167:168], v[175:176], -v[191:192]
	v_fma_f64 v[169:170], v[169:170], v[175:176], v[177:178]
	s_clause 0x1
	global_load_b128 v[175:178], v255, s[4:5] offset:6048
	global_load_b128 v[191:194], v255, s[4:5] offset:6480
	s_wait_loadcnt_dscnt 0x100
	v_mul_f64_e32 v[195:196], v[189:190], v[177:178]
	v_mul_f64_e32 v[177:178], v[187:188], v[177:178]
	s_delay_alu instid0(VALU_DEP_2) | instskip(NEXT) | instid1(VALU_DEP_2)
	v_fma_f64 v[187:188], v[187:188], v[175:176], -v[195:196]
	v_fma_f64 v[189:190], v[189:190], v[175:176], v[177:178]
	ds_load_b128 v[175:178], v141 offset:6480
	ds_load_b128 v[195:198], v141 offset:6912
	s_wait_loadcnt_dscnt 0x1
	v_mul_f64_e32 v[199:200], v[177:178], v[193:194]
	v_mul_f64_e32 v[193:194], v[175:176], v[193:194]
	s_delay_alu instid0(VALU_DEP_2) | instskip(NEXT) | instid1(VALU_DEP_2)
	v_fma_f64 v[175:176], v[175:176], v[191:192], -v[199:200]
	v_fma_f64 v[177:178], v[177:178], v[191:192], v[193:194]
	global_load_b128 v[191:194], v255, s[4:5] offset:6912
	s_wait_loadcnt_dscnt 0x0
	v_mul_f64_e32 v[199:200], v[197:198], v[193:194]
	v_mul_f64_e32 v[201:202], v[195:196], v[193:194]
	s_delay_alu instid0(VALU_DEP_2) | instskip(NEXT) | instid1(VALU_DEP_2)
	v_fma_f64 v[193:194], v[195:196], v[191:192], -v[199:200]
	v_fma_f64 v[195:196], v[197:198], v[191:192], v[201:202]
	ds_store_b128 v141, v[163:166] offset:432
	ds_store_b128 v141, v[179:182] offset:864
	;; [unrolled: 1-line block ×16, first 2 shown]
.LBB0_9:
	s_wait_alu 0xfffe
	s_or_b32 exec_lo, exec_lo, s6
	global_wb scope:SCOPE_SE
	s_wait_dscnt 0x0
	s_barrier_signal -1
	s_barrier_wait -1
	global_inv scope:SCOPE_SE
	s_and_saveexec_b32 s4, vcc_lo
	s_cbranch_execz .LBB0_11
; %bb.10:
	ds_load_b128 v[88:91], v140
	ds_load_b128 v[92:95], v140 offset:432
	ds_load_b128 v[96:99], v140 offset:864
	ds_load_b128 v[100:103], v140 offset:1296
	ds_load_b128 v[104:107], v140 offset:1728
	ds_load_b128 v[108:111], v140 offset:2160
	ds_load_b128 v[112:115], v140 offset:2592
	ds_load_b128 v[116:119], v140 offset:3024
	ds_load_b128 v[120:123], v140 offset:3456
	ds_load_b128 v[28:31], v140 offset:3888
	ds_load_b128 v[24:27], v140 offset:4320
	ds_load_b128 v[20:23], v140 offset:4752
	ds_load_b128 v[16:19], v140 offset:5184
	ds_load_b128 v[12:15], v140 offset:5616
	ds_load_b128 v[8:11], v140 offset:6048
	ds_load_b128 v[4:7], v140 offset:6480
	ds_load_b128 v[0:3], v140 offset:6912
.LBB0_11:
	s_wait_alu 0xfffe
	s_or_b32 exec_lo, exec_lo, s4
	global_wb scope:SCOPE_SE
	s_wait_dscnt 0x0
	s_barrier_signal -1
	s_barrier_wait -1
	global_inv scope:SCOPE_SE
	s_and_saveexec_b32 s33, vcc_lo
	s_cbranch_execz .LBB0_13
; %bb.12:
	v_add_f64_e32 v[126:127], v[88:89], v[92:93]
	v_add_f64_e32 v[124:125], v[90:91], v[94:95]
	v_add_f64_e64 v[134:135], v[96:97], -v[4:5]
	s_mov_b32 s24, 0x6c9a05f6
	s_mov_b32 s25, 0xbfe9895b
	s_mov_b32 s10, 0x6ed5f1bb
	s_mov_b32 s11, 0xbfe348c8
	s_mov_b32 s46, 0x923c349f
	s_mov_b32 s47, 0xbfeec746
	s_mov_b32 s14, 0xc61f0d01
	s_mov_b32 s15, 0xbfd183b1
	s_mov_b32 s26, 0xeb564b22
	s_mov_b32 s27, 0x3fefdd0d
	s_mov_b32 s43, 0xbfefdd0d
	s_wait_alu 0xfffe
	s_mov_b32 s42, s26
	s_mov_b32 s16, 0x3259b75e
	s_mov_b32 s17, 0x3fb79ee6
	s_mov_b32 s44, 0x7c9e640b
	s_mov_b32 s45, 0x3feca52d
	s_mov_b32 s37, 0xbfeca52d
	s_wait_alu 0xfffe
	s_mov_b32 s36, s44
	s_mov_b32 s18, 0x2b2883cd
	s_mov_b32 s19, 0x3fdc86fa
	s_mov_b32 s34, 0x2a9d6da3
	s_mov_b32 s35, 0x3fe58eea
	s_mov_b32 s49, 0xbfe58eea
	;; [unrolled: 7-line block ×3, first 2 shown]
	s_mov_b32 s41, 0x3fd71e95
	s_mov_b32 s29, 0xbfd71e95
	s_wait_alu 0xfffe
	s_mov_b32 s28, s40
	s_mov_b32 s6, 0x910ea3b9
	;; [unrolled: 1-line block ×4, first 2 shown]
	v_add_f64_e32 v[126:127], v[126:127], v[96:97]
	v_add_f64_e32 v[124:125], v[124:125], v[98:99]
	;; [unrolled: 1-line block ×3, first 2 shown]
	s_mov_b32 s7, 0xbfeb34fa
	s_mov_b32 s5, 0xbfef7484
	;; [unrolled: 1-line block ×3, first 2 shown]
	v_dual_mov_b32 v202, v146 :: v_dual_mov_b32 v201, v145
	v_dual_mov_b32 v200, v144 :: v_dual_mov_b32 v199, v143
	;; [unrolled: 1-line block ×6, first 2 shown]
	s_mov_b32 s51, 0x3fe9895b
	s_mov_b32 s50, s24
	;; [unrolled: 1-line block ×4, first 2 shown]
	v_dual_mov_b32 v34, v219 :: v_dual_mov_b32 v35, v220
	v_dual_mov_b32 v36, v221 :: v_dual_mov_b32 v37, v222
	v_mul_f64_e32 v[32:33], s[24:25], v[134:135]
	v_add_f64_e32 v[126:127], v[126:127], v[100:101]
	v_add_f64_e32 v[124:125], v[124:125], v[102:103]
	s_delay_alu instid0(VALU_DEP_2) | instskip(NEXT) | instid1(VALU_DEP_2)
	v_add_f64_e32 v[126:127], v[126:127], v[104:105]
	v_add_f64_e32 v[124:125], v[124:125], v[106:107]
	s_delay_alu instid0(VALU_DEP_2) | instskip(NEXT) | instid1(VALU_DEP_2)
	v_add_f64_e32 v[126:127], v[126:127], v[108:109]
	v_add_f64_e32 v[124:125], v[124:125], v[110:111]
	s_delay_alu instid0(VALU_DEP_2) | instskip(NEXT) | instid1(VALU_DEP_2)
	v_add_f64_e32 v[126:127], v[126:127], v[112:113]
	v_add_f64_e32 v[124:125], v[124:125], v[114:115]
	s_delay_alu instid0(VALU_DEP_2) | instskip(NEXT) | instid1(VALU_DEP_2)
	v_add_f64_e32 v[126:127], v[126:127], v[116:117]
	v_add_f64_e32 v[124:125], v[124:125], v[118:119]
	s_delay_alu instid0(VALU_DEP_2) | instskip(NEXT) | instid1(VALU_DEP_2)
	v_add_f64_e32 v[130:131], v[126:127], v[120:121]
	v_add_f64_e32 v[128:129], v[124:125], v[122:123]
	v_add_f64_e64 v[126:127], v[120:121], -v[28:29]
	v_add_f64_e32 v[124:125], v[122:123], v[30:31]
	v_add_f64_e32 v[120:121], v[120:121], v[28:29]
	v_add_f64_e64 v[122:123], v[122:123], -v[30:31]
	;; [unrolled: 3-line block ×4, first 2 shown]
	v_add_f64_e64 v[118:119], v[112:113], -v[20:21]
	v_mul_f64_e32 v[213:214], s[26:27], v[126:127]
	v_mul_f64_e32 v[215:216], s[26:27], v[122:123]
	;; [unrolled: 1-line block ×7, first 2 shown]
	v_add_f64_e32 v[130:131], v[130:131], v[24:25]
	v_add_f64_e32 v[132:133], v[132:133], v[26:27]
	;; [unrolled: 1-line block ×4, first 2 shown]
	v_add_f64_e64 v[112:113], v[114:115], -v[22:23]
	v_add_f64_e64 v[114:115], v[108:109], -v[16:17]
	v_mul_f64_e32 v[38:39], s[44:45], v[128:129]
	s_wait_alu 0xfffe
	v_mul_f64_e32 v[48:49], s[28:29], v[118:119]
	v_add_f64_e32 v[130:131], v[130:131], v[20:21]
	v_add_f64_e32 v[132:133], v[132:133], v[22:23]
	;; [unrolled: 1-line block ×4, first 2 shown]
	v_add_f64_e64 v[108:109], v[110:111], -v[18:19]
	v_add_f64_e64 v[110:111], v[104:105], -v[12:13]
	v_mul_f64_e32 v[40:41], s[34:35], v[114:115]
	v_fma_f64 v[50:51], v[26:27], s[22:23], -v[48:49]
	v_add_f64_e32 v[130:131], v[130:131], v[16:17]
	v_add_f64_e32 v[132:133], v[132:133], v[18:19]
	;; [unrolled: 1-line block ×4, first 2 shown]
	v_add_f64_e64 v[106:107], v[106:107], -v[14:15]
	v_add_f64_e32 v[104:105], v[102:103], v[10:11]
	v_add_f64_e64 v[102:103], v[102:103], -v[10:11]
	v_mul_f64_e32 v[241:242], s[52:53], v[110:111]
	v_fma_f64 v[42:43], v[22:23], s[20:21], -v[40:41]
	v_mul_f64_e32 v[44:45], s[34:35], v[108:109]
	v_mul_f64_e32 v[247:248], s[40:41], v[110:111]
	;; [unrolled: 1-line block ×3, first 2 shown]
	v_fma_f64 v[40:41], v[22:23], s[20:21], v[40:41]
	v_add_f64_e32 v[12:13], v[130:131], v[12:13]
	v_add_f64_e32 v[14:15], v[132:133], v[14:15]
	v_add_f64_e64 v[130:131], v[100:101], -v[8:9]
	v_add_f64_e32 v[100:101], v[100:101], v[8:9]
	v_add_f64_e64 v[132:133], v[98:99], -v[6:7]
	v_add_f64_e32 v[98:99], v[98:99], v[6:7]
	v_mul_f64_e32 v[243:244], s[52:53], v[106:107]
	v_mul_f64_e32 v[245:246], s[52:53], v[102:103]
	;; [unrolled: 1-line block ×3, first 2 shown]
	v_fma_f64 v[46:47], v[20:21], s[20:21], v[44:45]
	v_fma_f64 v[66:67], v[20:21], s[18:19], v[64:65]
	v_add_f64_e32 v[8:9], v[12:13], v[8:9]
	v_add_f64_e32 v[10:11], v[14:15], v[10:11]
	;; [unrolled: 1-line block ×4, first 2 shown]
	v_mul_f64_e32 v[253:254], s[24:25], v[130:131]
	v_mul_f64_e32 v[237:238], s[24:25], v[132:133]
	v_fma_f64 v[62:63], v[16:17], s[22:23], v[60:61]
	v_fma_f64 v[60:61], v[16:17], s[22:23], -v[60:61]
	v_add_f64_e32 v[4:5], v[8:9], v[4:5]
	v_add_f64_e64 v[8:9], v[92:93], -v[0:1]
	v_add_f64_e32 v[6:7], v[10:11], v[6:7]
	v_add_f64_e64 v[10:11], v[94:95], -v[2:3]
	s_delay_alu instid0(VALU_DEP_4) | instskip(NEXT) | instid1(VALU_DEP_4)
	v_add_f64_e32 v[0:1], v[4:5], v[0:1]
	v_mul_f64_e32 v[92:93], s[24:25], v[8:9]
	s_delay_alu instid0(VALU_DEP_4) | instskip(NEXT) | instid1(VALU_DEP_4)
	v_add_f64_e32 v[2:3], v[6:7], v[2:3]
	v_mul_f64_e32 v[167:168], s[24:25], v[10:11]
	v_mul_f64_e32 v[94:95], s[46:47], v[8:9]
	;; [unrolled: 1-line block ×13, first 2 shown]
	v_fma_f64 v[153:154], v[12:13], s[10:11], v[92:93]
	v_fma_f64 v[92:93], v[12:13], s[10:11], -v[92:93]
	scratch_store_b128 off, v[0:3], off offset:76 ; 16-byte Folded Spill
	v_fma_f64 v[181:182], v[14:15], s[10:11], -v[167:168]
	v_fma_f64 v[167:168], v[14:15], s[10:11], v[167:168]
	v_fma_f64 v[155:156], v[12:13], s[14:15], v[94:95]
	v_fma_f64 v[183:184], v[14:15], s[14:15], -v[169:170]
	v_fma_f64 v[157:158], v[12:13], s[16:17], v[136:137]
	v_fma_f64 v[185:186], v[14:15], s[16:17], -v[171:172]
	v_fma_f64 v[159:160], v[12:13], s[18:19], -v[138:139]
	v_fma_f64 v[138:139], v[12:13], s[18:19], v[138:139]
	v_fma_f64 v[187:188], v[14:15], s[18:19], v[173:174]
	v_fma_f64 v[173:174], v[14:15], s[18:19], -v[173:174]
	v_fma_f64 v[161:162], v[12:13], s[20:21], -v[147:148]
	v_fma_f64 v[147:148], v[12:13], s[20:21], v[147:148]
	v_fma_f64 v[189:190], v[14:15], s[20:21], v[175:176]
	v_fma_f64 v[175:176], v[14:15], s[20:21], -v[175:176]
	v_fma_f64 v[149:150], v[12:13], s[4:5], v[4:5]
	v_fma_f64 v[4:5], v[12:13], s[4:5], -v[4:5]
	;; [unrolled: 2-line block ×3, first 2 shown]
	v_fma_f64 v[94:95], v[12:13], s[14:15], -v[94:95]
	v_fma_f64 v[136:137], v[12:13], s[16:17], -v[136:137]
	;; [unrolled: 1-line block ×3, first 2 shown]
	v_fma_f64 v[8:9], v[12:13], s[22:23], v[8:9]
	v_mul_f64_e32 v[12:13], s[30:31], v[10:11]
	v_mul_f64_e32 v[10:11], s[28:29], v[10:11]
	v_fma_f64 v[179:180], v[14:15], s[6:7], -v[165:166]
	v_fma_f64 v[165:166], v[14:15], s[6:7], v[165:166]
	v_fma_f64 v[169:170], v[14:15], s[14:15], v[169:170]
	;; [unrolled: 1-line block ×3, first 2 shown]
	v_add_f64_e32 v[153:154], v[90:91], v[153:154]
	v_add_f64_e32 v[0:1], v[90:91], v[92:93]
	;; [unrolled: 1-line block ×7, first 2 shown]
	v_fma_f64 v[177:178], v[14:15], s[4:5], -v[12:13]
	v_fma_f64 v[12:13], v[14:15], s[4:5], v[12:13]
	v_fma_f64 v[191:192], v[14:15], s[22:23], v[10:11]
	v_fma_f64 v[10:11], v[14:15], s[22:23], -v[10:11]
	v_add_f64_e32 v[14:15], v[90:91], v[149:150]
	v_add_f64_e32 v[179:180], v[88:89], v[179:180]
	;; [unrolled: 1-line block ×4, first 2 shown]
	v_mul_f64_e32 v[171:172], s[42:43], v[132:133]
	v_add_f64_e32 v[249:250], v[88:89], v[169:170]
	v_add_f64_e32 v[169:170], v[88:89], v[187:188]
	v_mul_f64_e32 v[187:188], s[30:31], v[110:111]
	scratch_store_b64 off, v[0:1], off offset:260 ; 8-byte Folded Spill
	v_add_f64_e32 v[0:1], v[88:89], v[167:168]
	v_mul_f64_e32 v[167:168], s[24:25], v[102:103]
	v_add_f64_e32 v[149:150], v[88:89], v[177:178]
	v_add_f64_e32 v[177:178], v[90:91], v[4:5]
	v_add_f64_e32 v[12:13], v[88:89], v[12:13]
	scratch_store_b64 off, v[0:1], off offset:252 ; 8-byte Folded Spill
	v_add_f64_e32 v[0:1], v[90:91], v[155:156]
	v_add_f64_e32 v[155:156], v[90:91], v[161:162]
	v_add_f64_e32 v[161:162], v[88:89], v[191:192]
	scratch_store_b64 off, v[0:1], off offset:228 ; 8-byte Folded Spill
	v_add_f64_e32 v[0:1], v[88:89], v[183:184]
	v_mul_f64_e32 v[183:184], s[42:43], v[134:135]
	scratch_store_b64 off, v[0:1], off offset:220 ; 8-byte Folded Spill
	v_add_f64_e32 v[0:1], v[90:91], v[157:158]
	v_add_f64_e32 v[157:158], v[90:91], v[163:164]
	;; [unrolled: 1-line block ×3, first 2 shown]
	v_mul_f64_e32 v[189:190], s[30:31], v[122:123]
	scratch_store_b64 off, v[0:1], off offset:196 ; 8-byte Folded Spill
	v_add_f64_e32 v[0:1], v[88:89], v[185:186]
	v_mul_f64_e32 v[185:186], s[30:31], v[106:107]
	s_clause 0x1
	scratch_store_b64 off, v[0:1], off offset:188
	scratch_store_b128 off, v[203:206], off offset:20
	v_add_f64_e32 v[0:1], v[90:91], v[138:139]
	v_add_f64_e32 v[203:204], v[90:91], v[136:137]
	s_clause 0x1
	scratch_store_b128 off, v[207:210], off offset:36
	scratch_store_b64 off, v[0:1], off offset:180
	v_add_f64_e32 v[0:1], v[88:89], v[173:174]
	v_mul_f64_e32 v[173:174], s[30:31], v[132:133]
	scratch_store_b64 off, v[0:1], off offset:172 ; 8-byte Folded Spill
	v_add_f64_e32 v[0:1], v[90:91], v[147:148]
	scratch_store_b64 off, v[0:1], off offset:148 ; 8-byte Folded Spill
	v_add_f64_e32 v[0:1], v[88:89], v[175:176]
	scratch_store_b64 off, v[0:1], off offset:140 ; 8-byte Folded Spill
	v_add_f64_e32 v[0:1], v[90:91], v[8:9]
	v_mul_f64_e32 v[8:9], s[40:41], v[134:135]
	v_fma_f64 v[90:91], v[30:31], s[18:19], -v[38:39]
	scratch_store_b64 off, v[0:1], off offset:132 ; 8-byte Folded Spill
	v_fma_f64 v[4:5], v[98:99], s[22:23], v[8:9]
	v_add_f64_e32 v[0:1], v[88:89], v[10:11]
	v_mul_f64_e32 v[10:11], s[40:41], v[132:133]
	v_fma_f64 v[8:9], v[98:99], s[22:23], -v[8:9]
	v_mul_f64_e32 v[88:89], s[52:53], v[112:113]
	v_add_f64_e32 v[4:5], v[4:5], v[14:15]
	v_mul_f64_e32 v[14:15], s[38:39], v[130:131]
	v_fma_f64 v[6:7], v[96:97], s[22:23], -v[10:11]
	v_fma_f64 v[10:11], v[96:97], s[22:23], v[10:11]
	v_add_f64_e32 v[8:9], v[8:9], v[177:178]
	scratch_store_b64 off, v[0:1], off offset:124 ; 8-byte Folded Spill
	v_fma_f64 v[136:137], v[104:105], s[6:7], v[14:15]
	v_add_f64_e32 v[6:7], v[6:7], v[149:150]
	v_add_f64_e32 v[10:11], v[10:11], v[12:13]
	v_fma_f64 v[12:13], v[104:105], s[6:7], -v[14:15]
	v_fma_f64 v[14:15], v[120:121], s[16:17], v[215:216]
	v_add_f64_e32 v[4:5], v[136:137], v[4:5]
	v_mul_f64_e32 v[136:137], s[38:39], v[102:103]
	s_delay_alu instid0(VALU_DEP_4) | instskip(NEXT) | instid1(VALU_DEP_2)
	v_add_f64_e32 v[8:9], v[12:13], v[8:9]
	v_fma_f64 v[138:139], v[100:101], s[6:7], -v[136:137]
	v_fma_f64 v[12:13], v[100:101], s[6:7], v[136:137]
	v_mul_f64_e32 v[136:137], s[44:45], v[134:135]
	s_delay_alu instid0(VALU_DEP_3) | instskip(SKIP_1) | instid1(VALU_DEP_4)
	v_add_f64_e32 v[6:7], v[138:139], v[6:7]
	v_mul_f64_e32 v[138:139], s[34:35], v[110:111]
	v_add_f64_e32 v[10:11], v[12:13], v[10:11]
	s_delay_alu instid0(VALU_DEP_2) | instskip(SKIP_2) | instid1(VALU_DEP_3)
	v_fma_f64 v[147:148], v[18:19], s[20:21], v[138:139]
	v_fma_f64 v[12:13], v[18:19], s[20:21], -v[138:139]
	v_mul_f64_e32 v[138:139], s[44:45], v[132:133]
	v_add_f64_e32 v[4:5], v[147:148], v[4:5]
	v_mul_f64_e32 v[147:148], s[34:35], v[106:107]
	s_delay_alu instid0(VALU_DEP_4) | instskip(NEXT) | instid1(VALU_DEP_2)
	v_add_f64_e32 v[8:9], v[12:13], v[8:9]
	v_fma_f64 v[149:150], v[16:17], s[20:21], -v[147:148]
	v_fma_f64 v[12:13], v[16:17], s[20:21], v[147:148]
	v_mul_f64_e32 v[147:148], s[42:43], v[130:131]
	s_delay_alu instid0(VALU_DEP_3) | instskip(SKIP_1) | instid1(VALU_DEP_4)
	v_add_f64_e32 v[6:7], v[149:150], v[6:7]
	v_mul_f64_e32 v[149:150], s[24:25], v[114:115]
	v_add_f64_e32 v[10:11], v[12:13], v[10:11]
	s_delay_alu instid0(VALU_DEP_2) | instskip(SKIP_3) | instid1(VALU_DEP_4)
	v_fma_f64 v[175:176], v[22:23], s[10:11], v[149:150]
	v_fma_f64 v[12:13], v[22:23], s[10:11], -v[149:150]
	v_fma_f64 v[149:150], v[104:105], s[16:17], v[147:148]
	v_fma_f64 v[147:148], v[104:105], s[16:17], -v[147:148]
	v_add_f64_e32 v[4:5], v[175:176], v[4:5]
	v_mul_f64_e32 v[175:176], s[24:25], v[108:109]
	v_add_f64_e32 v[8:9], v[12:13], v[8:9]
	s_delay_alu instid0(VALU_DEP_2) | instskip(SKIP_1) | instid1(VALU_DEP_2)
	v_fma_f64 v[191:192], v[20:21], s[10:11], -v[175:176]
	v_fma_f64 v[12:13], v[20:21], s[10:11], v[175:176]
	v_add_f64_e32 v[6:7], v[191:192], v[6:7]
	v_mul_f64_e32 v[191:192], s[44:45], v[118:119]
	s_delay_alu instid0(VALU_DEP_3) | instskip(NEXT) | instid1(VALU_DEP_2)
	v_add_f64_e32 v[10:11], v[12:13], v[10:11]
	v_fma_f64 v[205:206], v[26:27], s[18:19], v[191:192]
	v_fma_f64 v[12:13], v[26:27], s[18:19], -v[191:192]
	s_delay_alu instid0(VALU_DEP_2) | instskip(SKIP_1) | instid1(VALU_DEP_3)
	v_add_f64_e32 v[4:5], v[205:206], v[4:5]
	v_mul_f64_e32 v[205:206], s[44:45], v[112:113]
	v_add_f64_e32 v[8:9], v[12:13], v[8:9]
	s_delay_alu instid0(VALU_DEP_2) | instskip(SKIP_1) | instid1(VALU_DEP_2)
	v_fma_f64 v[207:208], v[24:25], s[18:19], -v[205:206]
	v_fma_f64 v[12:13], v[24:25], s[18:19], v[205:206]
	v_add_f64_e32 v[6:7], v[207:208], v[6:7]
	v_mul_f64_e32 v[207:208], s[46:47], v[128:129]
	s_delay_alu instid0(VALU_DEP_3) | instskip(NEXT) | instid1(VALU_DEP_2)
	v_add_f64_e32 v[10:11], v[12:13], v[10:11]
	v_fma_f64 v[209:210], v[30:31], s[14:15], v[207:208]
	v_fma_f64 v[12:13], v[30:31], s[14:15], -v[207:208]
	s_delay_alu instid0(VALU_DEP_2) | instskip(SKIP_1) | instid1(VALU_DEP_3)
	v_add_f64_e32 v[4:5], v[209:210], v[4:5]
	v_mul_f64_e32 v[209:210], s[46:47], v[116:117]
	v_add_f64_e32 v[8:9], v[12:13], v[8:9]
	s_delay_alu instid0(VALU_DEP_2) | instskip(SKIP_1) | instid1(VALU_DEP_2)
	v_fma_f64 v[211:212], v[28:29], s[14:15], -v[209:210]
	v_fma_f64 v[12:13], v[28:29], s[14:15], v[209:210]
	v_add_f64_e32 v[211:212], v[211:212], v[6:7]
	v_fma_f64 v[6:7], v[124:125], s[16:17], v[213:214]
	s_delay_alu instid0(VALU_DEP_3) | instskip(SKIP_2) | instid1(VALU_DEP_4)
	v_add_f64_e32 v[12:13], v[12:13], v[10:11]
	v_fma_f64 v[10:11], v[124:125], s[16:17], -v[213:214]
	v_mul_f64_e32 v[213:214], s[46:47], v[126:127]
	v_add_f64_e32 v[2:3], v[6:7], v[4:5]
	v_fma_f64 v[4:5], v[120:121], s[16:17], -v[215:216]
	v_mul_f64_e32 v[215:216], s[46:47], v[122:123]
	s_delay_alu instid0(VALU_DEP_2)
	v_add_f64_e32 v[0:1], v[4:5], v[211:212]
	scratch_store_b128 off, v[0:3], off offset:92 ; 16-byte Folded Spill
	v_add_f64_e32 v[0:1], v[14:15], v[12:13]
	v_fma_f64 v[12:13], v[98:99], s[18:19], v[136:137]
	v_fma_f64 v[14:15], v[96:97], s[18:19], -v[138:139]
	v_fma_f64 v[136:137], v[98:99], s[18:19], -v[136:137]
	v_fma_f64 v[138:139], v[96:97], s[18:19], v[138:139]
	v_add_f64_e32 v[2:3], v[10:11], v[8:9]
	v_add_f64_e32 v[12:13], v[12:13], v[151:152]
	;; [unrolled: 1-line block ×5, first 2 shown]
	scratch_store_b128 off, v[0:3], off offset:108 ; 16-byte Folded Spill
	v_mul_f64_e32 v[193:194], s[38:39], v[106:107]
	v_fma_f64 v[165:166], v[96:97], s[4:5], v[173:174]
	v_add_f64_e32 v[12:13], v[149:150], v[12:13]
	v_mul_f64_e32 v[149:150], s[42:43], v[102:103]
	v_add_f64_e32 v[136:137], v[147:148], v[136:137]
	s_delay_alu instid0(VALU_DEP_4) | instskip(NEXT) | instid1(VALU_DEP_3)
	v_add_f64_e32 v[92:93], v[165:166], v[92:93]
	v_fma_f64 v[151:152], v[100:101], s[16:17], -v[149:150]
	v_fma_f64 v[147:148], v[100:101], s[16:17], v[149:150]
	v_fma_f64 v[149:150], v[120:121], s[14:15], v[215:216]
	s_delay_alu instid0(VALU_DEP_3) | instskip(SKIP_1) | instid1(VALU_DEP_4)
	v_add_f64_e32 v[14:15], v[151:152], v[14:15]
	v_mul_f64_e32 v[151:152], s[50:51], v[110:111]
	v_add_f64_e32 v[138:139], v[147:148], v[138:139]
	s_delay_alu instid0(VALU_DEP_2) | instskip(SKIP_1) | instid1(VALU_DEP_2)
	v_fma_f64 v[175:176], v[18:19], s[10:11], v[151:152]
	v_fma_f64 v[147:148], v[18:19], s[10:11], -v[151:152]
	v_add_f64_e32 v[12:13], v[175:176], v[12:13]
	v_mul_f64_e32 v[175:176], s[50:51], v[106:107]
	s_delay_alu instid0(VALU_DEP_3) | instskip(NEXT) | instid1(VALU_DEP_2)
	v_add_f64_e32 v[136:137], v[147:148], v[136:137]
	v_fma_f64 v[177:178], v[16:17], s[10:11], -v[175:176]
	v_fma_f64 v[147:148], v[16:17], s[10:11], v[175:176]
	v_mul_f64_e32 v[175:176], s[52:53], v[134:135]
	s_delay_alu instid0(VALU_DEP_3) | instskip(SKIP_1) | instid1(VALU_DEP_4)
	v_add_f64_e32 v[14:15], v[177:178], v[14:15]
	v_mul_f64_e32 v[177:178], s[28:29], v[114:115]
	v_add_f64_e32 v[138:139], v[147:148], v[138:139]
	s_delay_alu instid0(VALU_DEP_2) | instskip(SKIP_2) | instid1(VALU_DEP_3)
	v_fma_f64 v[179:180], v[22:23], s[22:23], v[177:178]
	v_fma_f64 v[147:148], v[22:23], s[22:23], -v[177:178]
	v_mul_f64_e32 v[177:178], s[52:53], v[132:133]
	v_add_f64_e32 v[12:13], v[179:180], v[12:13]
	v_mul_f64_e32 v[179:180], s[28:29], v[108:109]
	s_delay_alu instid0(VALU_DEP_4) | instskip(NEXT) | instid1(VALU_DEP_2)
	v_add_f64_e32 v[136:137], v[147:148], v[136:137]
	v_fma_f64 v[191:192], v[20:21], s[22:23], -v[179:180]
	v_fma_f64 v[147:148], v[20:21], s[22:23], v[179:180]
	v_mul_f64_e32 v[179:180], s[28:29], v[130:131]
	s_delay_alu instid0(VALU_DEP_3) | instskip(SKIP_1) | instid1(VALU_DEP_4)
	v_add_f64_e32 v[14:15], v[191:192], v[14:15]
	v_mul_f64_e32 v[191:192], s[30:31], v[118:119]
	v_add_f64_e32 v[138:139], v[147:148], v[138:139]
	s_delay_alu instid0(VALU_DEP_4) | instskip(NEXT) | instid1(VALU_DEP_3)
	v_fma_f64 v[151:152], v[104:105], s[22:23], v[179:180]
	v_fma_f64 v[205:206], v[26:27], s[4:5], v[191:192]
	v_fma_f64 v[147:148], v[26:27], s[4:5], -v[191:192]
	v_mul_f64_e32 v[191:192], s[38:39], v[110:111]
	s_delay_alu instid0(VALU_DEP_3) | instskip(SKIP_1) | instid1(VALU_DEP_4)
	v_add_f64_e32 v[12:13], v[205:206], v[12:13]
	v_mul_f64_e32 v[205:206], s[30:31], v[112:113]
	v_add_f64_e32 v[136:137], v[147:148], v[136:137]
	s_delay_alu instid0(VALU_DEP_2) | instskip(SKIP_2) | instid1(VALU_DEP_3)
	v_fma_f64 v[207:208], v[24:25], s[4:5], -v[205:206]
	v_fma_f64 v[147:148], v[24:25], s[4:5], v[205:206]
	v_mul_f64_e32 v[205:206], s[26:27], v[114:115]
	v_add_f64_e32 v[14:15], v[207:208], v[14:15]
	v_mul_f64_e32 v[207:208], s[34:35], v[128:129]
	s_delay_alu instid0(VALU_DEP_4) | instskip(NEXT) | instid1(VALU_DEP_2)
	v_add_f64_e32 v[138:139], v[147:148], v[138:139]
	v_fma_f64 v[209:210], v[30:31], s[20:21], v[207:208]
	v_fma_f64 v[147:148], v[30:31], s[20:21], -v[207:208]
	v_mul_f64_e32 v[207:208], s[26:27], v[108:109]
	s_delay_alu instid0(VALU_DEP_3) | instskip(SKIP_1) | instid1(VALU_DEP_4)
	v_add_f64_e32 v[12:13], v[209:210], v[12:13]
	v_mul_f64_e32 v[209:210], s[34:35], v[116:117]
	v_add_f64_e32 v[136:137], v[147:148], v[136:137]
	s_delay_alu instid0(VALU_DEP_2) | instskip(SKIP_2) | instid1(VALU_DEP_3)
	v_fma_f64 v[211:212], v[28:29], s[20:21], -v[209:210]
	v_fma_f64 v[147:148], v[28:29], s[20:21], v[209:210]
	v_mul_f64_e32 v[209:210], s[48:49], v[118:119]
	v_add_f64_e32 v[211:212], v[211:212], v[14:15]
	v_fma_f64 v[14:15], v[124:125], s[14:15], v[213:214]
	s_delay_alu instid0(VALU_DEP_4) | instskip(SKIP_2) | instid1(VALU_DEP_4)
	v_add_f64_e32 v[147:148], v[147:148], v[138:139]
	v_fma_f64 v[138:139], v[124:125], s[14:15], -v[213:214]
	v_mul_f64_e32 v[213:214], s[30:31], v[128:129]
	v_add_f64_e32 v[2:3], v[14:15], v[12:13]
	v_fma_f64 v[12:13], v[120:121], s[14:15], -v[215:216]
	v_mul_f64_e32 v[215:216], s[30:31], v[116:117]
	s_delay_alu instid0(VALU_DEP_2)
	v_add_f64_e32 v[0:1], v[12:13], v[211:212]
	v_mul_f64_e32 v[211:212], s[48:49], v[112:113]
	scratch_store_b128 off, v[0:3], off offset:156 ; 16-byte Folded Spill
	v_add_f64_e32 v[0:1], v[149:150], v[147:148]
	v_fma_f64 v[147:148], v[98:99], s[14:15], v[175:176]
	v_fma_f64 v[149:150], v[96:97], s[14:15], -v[177:178]
	v_add_f64_e32 v[2:3], v[138:139], v[136:137]
	v_dual_mov_b32 v139, v75 :: v_dual_mov_b32 v138, v74
	v_dual_mov_b32 v137, v73 :: v_dual_mov_b32 v136, v72
	v_mul_f64_e32 v[72:73], s[50:51], v[116:117]
	v_add_f64_e32 v[147:148], v[147:148], v[153:154]
	v_add_f64_e32 v[149:150], v[149:150], v[181:182]
	v_mul_f64_e32 v[181:182], s[28:29], v[102:103]
	scratch_store_b128 off, v[0:3], off offset:204 ; 16-byte Folded Spill
	v_fma_f64 v[74:75], v[28:29], s[10:11], v[72:73]
	v_add_f64_e32 v[147:148], v[151:152], v[147:148]
	v_fma_f64 v[151:152], v[100:101], s[22:23], -v[181:182]
	s_delay_alu instid0(VALU_DEP_1) | instskip(SKIP_1) | instid1(VALU_DEP_1)
	v_add_f64_e32 v[149:150], v[151:152], v[149:150]
	v_fma_f64 v[151:152], v[18:19], s[6:7], v[191:192]
	v_add_f64_e32 v[147:148], v[151:152], v[147:148]
	v_fma_f64 v[151:152], v[16:17], s[6:7], -v[193:194]
	s_delay_alu instid0(VALU_DEP_1) | instskip(SKIP_1) | instid1(VALU_DEP_1)
	v_add_f64_e32 v[149:150], v[151:152], v[149:150]
	;; [unrolled: 5-line block ×5, first 2 shown]
	v_fma_f64 v[149:150], v[124:125], s[18:19], v[217:218]
	v_add_f64_e32 v[2:3], v[149:150], v[147:148]
	v_fma_f64 v[147:148], v[120:121], s[18:19], -v[219:220]
	s_delay_alu instid0(VALU_DEP_1)
	v_add_f64_e32 v[0:1], v[147:148], v[151:152]
	v_mul_f64_e32 v[147:148], s[52:53], v[118:119]
	scratch_store_b128 off, v[0:3], off offset:236 ; 16-byte Folded Spill
	v_mul_f64_e32 v[0:1], s[48:49], v[134:135]
	v_fma_f64 v[14:15], v[26:27], s[14:15], -v[147:148]
	scratch_store_b64 off, v[0:1], off offset:268 ; 8-byte Folded Spill
	v_fma_f64 v[151:152], v[98:99], s[20:21], -v[0:1]
	v_mul_f64_e32 v[0:1], s[48:49], v[132:133]
	s_delay_alu instid0(VALU_DEP_2) | instskip(SKIP_3) | instid1(VALU_DEP_2)
	v_add_f64_e32 v[151:152], v[151:152], v[157:158]
	scratch_store_b64 off, v[0:1], off offset:276 ; 8-byte Folded Spill
	v_fma_f64 v[153:154], v[96:97], s[20:21], v[0:1]
	v_mul_f64_e32 v[0:1], s[36:37], v[130:131]
	v_add_f64_e32 v[153:154], v[153:154], v[161:162]
	scratch_store_b64 off, v[0:1], off offset:284 ; 8-byte Folded Spill
	v_fma_f64 v[157:158], v[104:105], s[18:19], -v[0:1]
	v_mul_f64_e32 v[0:1], s[36:37], v[102:103]
	v_fma_f64 v[161:162], v[104:105], s[10:11], -v[253:254]
	s_delay_alu instid0(VALU_DEP_3) | instskip(SKIP_3) | instid1(VALU_DEP_2)
	v_add_f64_e32 v[151:152], v[157:158], v[151:152]
	scratch_store_b64 off, v[0:1], off offset:292 ; 8-byte Folded Spill
	v_fma_f64 v[157:158], v[100:101], s[18:19], v[0:1]
	v_mul_f64_e32 v[0:1], s[42:43], v[110:111]
	v_add_f64_e32 v[153:154], v[157:158], v[153:154]
	scratch_store_b64 off, v[0:1], off offset:300 ; 8-byte Folded Spill
	v_fma_f64 v[157:158], v[18:19], s[16:17], -v[0:1]
	v_mul_f64_e32 v[0:1], s[42:43], v[106:107]
	s_delay_alu instid0(VALU_DEP_2) | instskip(SKIP_3) | instid1(VALU_DEP_2)
	v_add_f64_e32 v[151:152], v[157:158], v[151:152]
	scratch_store_b64 off, v[0:1], off offset:308 ; 8-byte Folded Spill
	v_fma_f64 v[157:158], v[16:17], s[16:17], v[0:1]
	v_mul_f64_e32 v[0:1], s[46:47], v[114:115]
	v_add_f64_e32 v[153:154], v[157:158], v[153:154]
	scratch_store_b64 off, v[0:1], off offset:316 ; 8-byte Folded Spill
	v_fma_f64 v[157:158], v[22:23], s[14:15], -v[0:1]
	v_mul_f64_e32 v[0:1], s[46:47], v[108:109]
	s_mov_b32 s47, 0x3fe0d888
	s_mov_b32 s46, s38
	s_wait_alu 0xfffe
	v_mul_f64_e32 v[149:150], s[46:47], v[114:115]
	v_mul_f64_e32 v[221:222], s[46:47], v[108:109]
	s_delay_alu instid0(VALU_DEP_4)
	v_add_f64_e32 v[151:152], v[157:158], v[151:152]
	scratch_store_b64 off, v[0:1], off offset:324 ; 8-byte Folded Spill
	v_fma_f64 v[157:158], v[20:21], s[14:15], v[0:1]
	v_mul_f64_e32 v[0:1], s[24:25], v[118:119]
	v_fma_f64 v[6:7], v[22:23], s[6:7], -v[149:150]
	v_fma_f64 v[10:11], v[20:21], s[6:7], v[221:222]
	s_delay_alu instid0(VALU_DEP_4) | instskip(SKIP_3) | instid1(VALU_DEP_2)
	v_add_f64_e32 v[153:154], v[157:158], v[153:154]
	scratch_store_b64 off, v[0:1], off offset:332 ; 8-byte Folded Spill
	v_fma_f64 v[157:158], v[26:27], s[10:11], -v[0:1]
	v_mul_f64_e32 v[0:1], s[24:25], v[112:113]
	v_add_f64_e32 v[151:152], v[157:158], v[151:152]
	scratch_store_b64 off, v[0:1], off offset:340 ; 8-byte Folded Spill
	v_fma_f64 v[157:158], v[24:25], s[10:11], v[0:1]
	v_mul_f64_e32 v[0:1], s[38:39], v[128:129]
	s_delay_alu instid0(VALU_DEP_2)
	v_add_f64_e32 v[153:154], v[157:158], v[153:154]
	scratch_store_b64 off, v[0:1], off offset:348 ; 8-byte Folded Spill
	v_fma_f64 v[157:158], v[30:31], s[6:7], -v[0:1]
	s_clause 0x1
	scratch_store_b32 off, v231, off offset:52
	scratch_store_b32 off, v232, off offset:60
	v_mul_f64_e32 v[231:232], s[38:39], v[116:117]
	scratch_store_b32 off, v140, off offset:68 ; 4-byte Folded Spill
	v_dual_mov_b32 v140, v255 :: v_dual_mov_b32 v255, v233
	v_mul_f64_e32 v[233:234], s[40:41], v[126:127]
	v_dual_mov_b32 v0, v80 :: v_dual_mov_b32 v1, v81
	v_dual_mov_b32 v2, v82 :: v_dual_mov_b32 v3, v83
	v_mul_f64_e32 v[80:81], s[36:37], v[106:107]
	v_add_f64_e32 v[151:152], v[157:158], v[151:152]
	v_fma_f64 v[157:158], v[28:29], s[6:7], v[231:232]
	s_delay_alu instid0(VALU_DEP_3) | instskip(SKIP_1) | instid1(VALU_DEP_3)
	v_fma_f64 v[82:83], v[16:17], s[18:19], v[80:81]
	v_fma_f64 v[80:81], v[16:17], s[18:19], -v[80:81]
	v_add_f64_e32 v[157:158], v[157:158], v[153:154]
	v_fma_f64 v[153:154], v[124:125], s[4:5], -v[235:236]
	s_delay_alu instid0(VALU_DEP_1) | instskip(SKIP_1) | instid1(VALU_DEP_1)
	v_add_f64_e32 v[153:154], v[153:154], v[151:152]
	v_fma_f64 v[151:152], v[120:121], s[4:5], v[189:190]
	v_add_f64_e32 v[151:152], v[151:152], v[157:158]
	v_fma_f64 v[157:158], v[98:99], s[16:17], -v[183:184]
	s_delay_alu instid0(VALU_DEP_1) | instskip(SKIP_1) | instid1(VALU_DEP_2)
	v_add_f64_e32 v[155:156], v[157:158], v[155:156]
	v_fma_f64 v[157:158], v[96:97], s[16:17], v[171:172]
	v_add_f64_e32 v[155:156], v[161:162], v[155:156]
	s_delay_alu instid0(VALU_DEP_2) | instskip(SKIP_1) | instid1(VALU_DEP_1)
	v_add_f64_e32 v[157:158], v[157:158], v[163:164]
	v_fma_f64 v[161:162], v[100:101], s[10:11], v[167:168]
	v_add_f64_e32 v[157:158], v[161:162], v[157:158]
	v_fma_f64 v[161:162], v[18:19], s[4:5], -v[187:188]
	s_delay_alu instid0(VALU_DEP_1) | instskip(SKIP_1) | instid1(VALU_DEP_2)
	v_add_f64_e32 v[155:156], v[161:162], v[155:156]
	v_fma_f64 v[161:162], v[16:17], s[4:5], v[185:186]
	v_add_f64_e32 v[6:7], v[6:7], v[155:156]
	s_delay_alu instid0(VALU_DEP_2) | instskip(SKIP_2) | instid1(VALU_DEP_4)
	v_add_f64_e32 v[157:158], v[161:162], v[157:158]
	v_fma_f64 v[161:162], v[98:99], s[10:11], -v[32:33]
	v_fma_f64 v[155:156], v[24:25], s[14:15], v[88:89]
	v_add_f64_e32 v[6:7], v[14:15], v[6:7]
	v_dual_mov_b32 v12, v52 :: v_dual_mov_b32 v13, v53
	s_delay_alu instid0(VALU_DEP_4)
	v_add_f64_e32 v[159:160], v[161:162], v[159:160]
	v_fma_f64 v[161:162], v[96:97], s[10:11], v[237:238]
	v_dual_mov_b32 v14, v54 :: v_dual_mov_b32 v15, v55
	v_mul_f64_e32 v[52:53], s[42:43], v[128:129]
	v_add_f64_e32 v[10:11], v[10:11], v[157:158]
	v_add_f64_e32 v[6:7], v[90:91], v[6:7]
	v_mul_f64_e32 v[90:91], s[44:45], v[116:117]
	s_mov_b32 s45, 0x3fc7851a
	s_mov_b32 s44, s30
	v_add_f64_e32 v[161:162], v[161:162], v[169:170]
	s_wait_alu 0xfffe
	v_mul_f64_e32 v[169:170], s[44:45], v[130:131]
	v_mul_f64_e32 v[239:240], s[44:45], v[102:103]
	v_fma_f64 v[54:55], v[30:31], s[16:17], -v[52:53]
	v_add_f64_e32 v[10:11], v[155:156], v[10:11]
	v_mul_f64_e32 v[102:103], s[34:35], v[102:103]
	v_fma_f64 v[155:156], v[28:29], s[18:19], v[90:91]
	v_fma_f64 v[163:164], v[104:105], s[4:5], -v[169:170]
	s_delay_alu instid0(VALU_DEP_2) | instskip(SKIP_1) | instid1(VALU_DEP_3)
	v_add_f64_e32 v[10:11], v[155:156], v[10:11]
	v_fma_f64 v[155:156], v[124:125], s[22:23], -v[233:234]
	v_add_f64_e32 v[159:160], v[163:164], v[159:160]
	v_fma_f64 v[163:164], v[100:101], s[4:5], v[239:240]
	s_delay_alu instid0(VALU_DEP_3) | instskip(SKIP_2) | instid1(VALU_DEP_4)
	v_add_f64_e32 v[157:158], v[155:156], v[6:7]
	v_fma_f64 v[155:156], v[120:121], s[22:23], v[58:59]
	v_dual_mov_b32 v4, v76 :: v_dual_mov_b32 v5, v77
	v_add_f64_e32 v[161:162], v[163:164], v[161:162]
	v_fma_f64 v[163:164], v[18:19], s[14:15], -v[241:242]
	v_dual_mov_b32 v6, v78 :: v_dual_mov_b32 v7, v79
	v_mul_f64_e32 v[76:77], s[34:35], v[122:123]
	v_add_f64_e32 v[155:156], v[155:156], v[10:11]
	v_dual_mov_b32 v8, v68 :: v_dual_mov_b32 v9, v69
	v_dual_mov_b32 v10, v70 :: v_dual_mov_b32 v11, v71
	v_add_f64_e32 v[159:160], v[163:164], v[159:160]
	v_fma_f64 v[163:164], v[16:17], s[14:15], v[243:244]
	v_mul_f64_e32 v[68:69], s[38:39], v[112:113]
	v_fma_f64 v[78:79], v[120:121], s[20:21], v[76:77]
	s_delay_alu instid0(VALU_DEP_4) | instskip(NEXT) | instid1(VALU_DEP_4)
	v_add_f64_e32 v[42:43], v[42:43], v[159:160]
	v_add_f64_e32 v[161:162], v[163:164], v[161:162]
	s_delay_alu instid0(VALU_DEP_4) | instskip(NEXT) | instid1(VALU_DEP_3)
	v_fma_f64 v[70:71], v[24:25], s[6:7], v[68:69]
	v_add_f64_e32 v[42:43], v[50:51], v[42:43]
	v_mul_f64_e32 v[50:51], s[28:29], v[112:113]
	s_delay_alu instid0(VALU_DEP_4) | instskip(NEXT) | instid1(VALU_DEP_3)
	v_add_f64_e32 v[46:47], v[46:47], v[161:162]
	v_add_f64_e32 v[42:43], v[54:55], v[42:43]
	s_delay_alu instid0(VALU_DEP_3) | instskip(SKIP_2) | instid1(VALU_DEP_3)
	v_fma_f64 v[159:160], v[24:25], s[22:23], v[50:51]
	v_mul_f64_e32 v[54:55], s[42:43], v[116:117]
	v_mul_f64_e32 v[116:117], s[28:29], v[116:117]
	v_add_f64_e32 v[46:47], v[159:160], v[46:47]
	s_delay_alu instid0(VALU_DEP_3) | instskip(NEXT) | instid1(VALU_DEP_1)
	v_fma_f64 v[159:160], v[28:29], s[16:17], v[54:55]
	v_add_f64_e32 v[46:47], v[159:160], v[46:47]
	v_fma_f64 v[159:160], v[124:125], s[6:7], -v[56:57]
	s_delay_alu instid0(VALU_DEP_1) | instskip(SKIP_2) | instid1(VALU_DEP_2)
	v_add_f64_e32 v[161:162], v[159:160], v[42:43]
	v_mul_f64_e32 v[42:43], s[38:39], v[122:123]
	v_mul_f64_e32 v[122:123], s[24:25], v[122:123]
	v_fma_f64 v[159:160], v[120:121], s[6:7], v[42:43]
	v_fma_f64 v[42:43], v[120:121], s[6:7], -v[42:43]
	s_delay_alu instid0(VALU_DEP_2) | instskip(SKIP_1) | instid1(VALU_DEP_1)
	v_add_f64_e32 v[159:160], v[159:160], v[46:47]
	v_mul_f64_e32 v[46:47], s[30:31], v[134:135]
	v_fma_f64 v[163:164], v[98:99], s[4:5], -v[46:47]
	v_fma_f64 v[46:47], v[98:99], s[4:5], v[46:47]
	s_delay_alu instid0(VALU_DEP_2) | instskip(SKIP_2) | instid1(VALU_DEP_2)
	v_add_f64_e32 v[163:164], v[163:164], v[203:204]
	v_mul_f64_e32 v[203:204], s[52:53], v[130:131]
	v_mul_f64_e32 v[130:131], s[34:35], v[130:131]
	v_fma_f64 v[165:166], v[104:105], s[14:15], -v[203:204]
	s_delay_alu instid0(VALU_DEP_1) | instskip(SKIP_1) | instid1(VALU_DEP_1)
	v_add_f64_e32 v[163:164], v[165:166], v[163:164]
	v_fma_f64 v[165:166], v[100:101], s[14:15], v[245:246]
	v_add_f64_e32 v[92:93], v[165:166], v[92:93]
	v_fma_f64 v[165:166], v[18:19], s[22:23], -v[247:248]
	s_delay_alu instid0(VALU_DEP_2) | instskip(SKIP_1) | instid1(VALU_DEP_3)
	v_add_f64_e32 v[62:63], v[62:63], v[92:93]
	v_mul_f64_e32 v[92:93], s[36:37], v[114:115]
	v_add_f64_e32 v[163:164], v[165:166], v[163:164]
	v_mul_f64_e32 v[114:115], s[30:31], v[114:115]
	s_delay_alu instid0(VALU_DEP_4) | instskip(NEXT) | instid1(VALU_DEP_4)
	v_add_f64_e32 v[62:63], v[66:67], v[62:63]
	v_fma_f64 v[165:166], v[22:23], s[18:19], -v[92:93]
	v_mul_f64_e32 v[66:67], s[38:39], v[118:119]
	s_delay_alu instid0(VALU_DEP_4)
	v_fma_f64 v[106:107], v[22:23], s[4:5], -v[114:115]
	v_mul_f64_e32 v[118:119], s[26:27], v[118:119]
	v_add_f64_e32 v[62:63], v[70:71], v[62:63]
	v_add_f64_e32 v[163:164], v[165:166], v[163:164]
	v_fma_f64 v[165:166], v[26:27], s[6:7], -v[66:67]
	v_mul_f64_e32 v[70:71], s[50:51], v[128:129]
	s_delay_alu instid0(VALU_DEP_4) | instskip(SKIP_1) | instid1(VALU_DEP_4)
	v_add_f64_e32 v[62:63], v[74:75], v[62:63]
	v_mul_f64_e32 v[74:75], s[34:35], v[126:127]
	v_add_f64_e32 v[163:164], v[165:166], v[163:164]
	s_delay_alu instid0(VALU_DEP_4) | instskip(SKIP_1) | instid1(VALU_DEP_2)
	v_fma_f64 v[165:166], v[30:31], s[10:11], -v[70:71]
	v_mul_f64_e32 v[126:127], s[24:25], v[126:127]
	v_add_f64_e32 v[163:164], v[165:166], v[163:164]
	v_fma_f64 v[165:166], v[124:125], s[20:21], -v[74:75]
	s_delay_alu instid0(VALU_DEP_1) | instskip(SKIP_3) | instid1(VALU_DEP_2)
	v_add_f64_e32 v[165:166], v[165:166], v[163:164]
	v_add_f64_e32 v[163:164], v[78:79], v[62:63]
	v_mul_f64_e32 v[62:63], s[46:47], v[134:135]
	v_fma_f64 v[134:135], v[104:105], s[20:21], -v[130:131]
	v_fma_f64 v[78:79], v[98:99], s[6:7], -v[62:63]
	v_fma_f64 v[62:63], v[98:99], s[6:7], v[62:63]
	s_delay_alu instid0(VALU_DEP_2) | instskip(SKIP_1) | instid1(VALU_DEP_2)
	v_add_f64_e32 v[78:79], v[78:79], v[94:95]
	v_mul_f64_e32 v[94:95], s[46:47], v[132:133]
	v_add_f64_e32 v[78:79], v[134:135], v[78:79]
	s_delay_alu instid0(VALU_DEP_2) | instskip(SKIP_1) | instid1(VALU_DEP_2)
	v_fma_f64 v[132:133], v[96:97], s[6:7], v[94:95]
	v_fma_f64 v[134:135], v[100:101], s[20:21], v[102:103]
	v_add_f64_e32 v[132:133], v[132:133], v[249:250]
	v_dual_mov_b32 v252, v87 :: v_dual_mov_b32 v251, v86
	v_dual_mov_b32 v250, v85 :: v_dual_mov_b32 v249, v84
	v_mul_f64_e32 v[84:85], s[26:27], v[112:113]
	s_delay_alu instid0(VALU_DEP_4) | instskip(SKIP_1) | instid1(VALU_DEP_3)
	v_add_f64_e32 v[132:133], v[134:135], v[132:133]
	v_mul_f64_e32 v[134:135], s[36:37], v[110:111]
	v_fma_f64 v[86:87], v[24:25], s[16:17], v[84:85]
	s_delay_alu instid0(VALU_DEP_3) | instskip(NEXT) | instid1(VALU_DEP_3)
	v_add_f64_e32 v[82:83], v[82:83], v[132:133]
	v_fma_f64 v[110:111], v[18:19], s[18:19], -v[134:135]
	v_mul_f64_e32 v[132:133], s[30:31], v[108:109]
	s_delay_alu instid0(VALU_DEP_2) | instskip(SKIP_3) | instid1(VALU_DEP_1)
	v_add_f64_e32 v[78:79], v[110:111], v[78:79]
	scratch_load_b64 v[110:111], off, off offset:252 th:TH_LOAD_LU ; 8-byte Folded Reload
	v_add_f64_e32 v[78:79], v[106:107], v[78:79]
	v_fma_f64 v[106:107], v[20:21], s[4:5], v[132:133]
	v_add_f64_e32 v[82:83], v[106:107], v[82:83]
	v_fma_f64 v[106:107], v[26:27], s[16:17], -v[118:119]
	s_delay_alu instid0(VALU_DEP_2) | instskip(SKIP_1) | instid1(VALU_DEP_3)
	v_add_f64_e32 v[82:83], v[86:87], v[82:83]
	v_mul_f64_e32 v[86:87], s[28:29], v[128:129]
	v_add_f64_e32 v[78:79], v[106:107], v[78:79]
	v_fma_f64 v[128:129], v[120:121], s[18:19], v[219:220]
	s_delay_alu instid0(VALU_DEP_3) | instskip(NEXT) | instid1(VALU_DEP_1)
	v_fma_f64 v[106:107], v[30:31], s[22:23], -v[86:87]
	v_add_f64_e32 v[78:79], v[106:107], v[78:79]
	v_fma_f64 v[106:107], v[28:29], s[22:23], v[116:117]
	s_delay_alu instid0(VALU_DEP_1) | instskip(SKIP_1) | instid1(VALU_DEP_1)
	v_add_f64_e32 v[82:83], v[106:107], v[82:83]
	v_fma_f64 v[106:107], v[124:125], s[10:11], -v[126:127]
	v_add_f64_e32 v[108:109], v[106:107], v[78:79]
	v_fma_f64 v[78:79], v[120:121], s[10:11], v[122:123]
	s_delay_alu instid0(VALU_DEP_1) | instskip(SKIP_3) | instid1(VALU_DEP_1)
	v_add_f64_e32 v[106:107], v[78:79], v[82:83]
	scratch_load_b64 v[82:83], off, off offset:260 th:TH_LOAD_LU ; 8-byte Folded Reload
	v_fma_f64 v[78:79], v[98:99], s[14:15], -v[175:176]
	s_wait_loadcnt 0x0
	v_add_f64_e32 v[78:79], v[78:79], v[82:83]
	v_fma_f64 v[82:83], v[96:97], s[14:15], v[177:178]
	s_delay_alu instid0(VALU_DEP_1) | instskip(SKIP_1) | instid1(VALU_DEP_1)
	v_add_f64_e32 v[82:83], v[82:83], v[110:111]
	v_fma_f64 v[110:111], v[104:105], s[22:23], -v[179:180]
	v_add_f64_e32 v[78:79], v[110:111], v[78:79]
	v_fma_f64 v[110:111], v[100:101], s[22:23], v[181:182]
	s_delay_alu instid0(VALU_DEP_1) | instskip(SKIP_1) | instid1(VALU_DEP_1)
	v_add_f64_e32 v[82:83], v[110:111], v[82:83]
	v_fma_f64 v[110:111], v[18:19], s[6:7], -v[191:192]
	v_add_f64_e32 v[78:79], v[110:111], v[78:79]
	v_fma_f64 v[110:111], v[16:17], s[6:7], v[193:194]
	s_delay_alu instid0(VALU_DEP_1) | instskip(SKIP_1) | instid1(VALU_DEP_1)
	v_add_f64_e32 v[82:83], v[110:111], v[82:83]
	v_fma_f64 v[110:111], v[22:23], s[16:17], -v[205:206]
	v_add_f64_e32 v[78:79], v[110:111], v[78:79]
	v_fma_f64 v[110:111], v[20:21], s[16:17], v[207:208]
	s_delay_alu instid0(VALU_DEP_1) | instskip(SKIP_4) | instid1(VALU_DEP_1)
	v_add_f64_e32 v[82:83], v[110:111], v[82:83]
	v_fma_f64 v[110:111], v[26:27], s[20:21], -v[209:210]
	scratch_load_b128 v[207:210], off, off offset:36 ; 16-byte Folded Reload
	v_add_f64_e32 v[78:79], v[110:111], v[78:79]
	v_fma_f64 v[110:111], v[24:25], s[20:21], v[211:212]
	v_add_f64_e32 v[82:83], v[110:111], v[82:83]
	v_fma_f64 v[110:111], v[30:31], s[4:5], -v[213:214]
	v_dual_mov_b32 v214, v146 :: v_dual_mov_b32 v213, v145
	v_dual_mov_b32 v212, v144 :: v_dual_mov_b32 v211, v143
	;; [unrolled: 1-line block ×4, first 2 shown]
	v_add_f64_e32 v[78:79], v[110:111], v[78:79]
	v_fma_f64 v[110:111], v[28:29], s[4:5], v[215:216]
	s_delay_alu instid0(VALU_DEP_1) | instskip(SKIP_3) | instid1(VALU_DEP_3)
	v_add_f64_e32 v[82:83], v[110:111], v[82:83]
	v_fma_f64 v[110:111], v[124:125], s[18:19], -v[217:218]
	v_dual_mov_b32 v218, v198 :: v_dual_mov_b32 v217, v197
	v_dual_mov_b32 v216, v196 :: v_dual_mov_b32 v215, v195
	v_add_f64_e32 v[112:113], v[110:111], v[78:79]
	scratch_load_b64 v[78:79], off, off offset:228 th:TH_LOAD_LU ; 8-byte Folded Reload
	v_add_f64_e32 v[110:111], v[128:129], v[82:83]
	scratch_load_b64 v[82:83], off, off offset:220 th:TH_LOAD_LU ; 8-byte Folded Reload
	s_wait_loadcnt 0x1
	v_add_f64_e32 v[62:63], v[62:63], v[78:79]
	v_fma_f64 v[78:79], v[96:97], s[6:7], -v[94:95]
	s_wait_loadcnt 0x0
	s_delay_alu instid0(VALU_DEP_1) | instskip(SKIP_1) | instid1(VALU_DEP_1)
	v_add_f64_e32 v[78:79], v[78:79], v[82:83]
	v_fma_f64 v[82:83], v[104:105], s[20:21], v[130:131]
	v_add_f64_e32 v[62:63], v[82:83], v[62:63]
	v_fma_f64 v[82:83], v[100:101], s[20:21], -v[102:103]
	s_delay_alu instid0(VALU_DEP_1) | instskip(SKIP_1) | instid1(VALU_DEP_2)
	v_add_f64_e32 v[78:79], v[82:83], v[78:79]
	v_fma_f64 v[82:83], v[18:19], s[18:19], v[134:135]
	v_add_f64_e32 v[78:79], v[80:81], v[78:79]
	s_delay_alu instid0(VALU_DEP_2) | instskip(SKIP_2) | instid1(VALU_DEP_2)
	v_add_f64_e32 v[62:63], v[82:83], v[62:63]
	v_fma_f64 v[80:81], v[22:23], s[4:5], v[114:115]
	v_fma_f64 v[82:83], v[120:121], s[10:11], -v[122:123]
	v_add_f64_e32 v[62:63], v[80:81], v[62:63]
	v_fma_f64 v[80:81], v[20:21], s[4:5], -v[132:133]
	s_delay_alu instid0(VALU_DEP_1) | instskip(SKIP_1) | instid1(VALU_DEP_1)
	v_add_f64_e32 v[78:79], v[80:81], v[78:79]
	v_fma_f64 v[80:81], v[26:27], s[16:17], v[118:119]
	v_add_f64_e32 v[62:63], v[80:81], v[62:63]
	v_fma_f64 v[80:81], v[24:25], s[16:17], -v[84:85]
	s_delay_alu instid0(VALU_DEP_1) | instskip(SKIP_3) | instid1(VALU_DEP_3)
	v_add_f64_e32 v[78:79], v[80:81], v[78:79]
	v_fma_f64 v[80:81], v[30:31], s[22:23], v[86:87]
	v_dual_mov_b32 v84, v249 :: v_dual_mov_b32 v85, v250
	v_dual_mov_b32 v86, v251 :: v_dual_mov_b32 v87, v252
	v_add_f64_e32 v[62:63], v[80:81], v[62:63]
	v_fma_f64 v[80:81], v[28:29], s[22:23], -v[116:117]
	s_delay_alu instid0(VALU_DEP_1) | instskip(SKIP_1) | instid1(VALU_DEP_2)
	v_add_f64_e32 v[78:79], v[80:81], v[78:79]
	v_fma_f64 v[80:81], v[124:125], s[10:11], v[126:127]
	v_add_f64_e32 v[114:115], v[82:83], v[78:79]
	s_delay_alu instid0(VALU_DEP_2)
	v_add_f64_e32 v[116:117], v[80:81], v[62:63]
	v_dual_mov_b32 v83, v3 :: v_dual_mov_b32 v82, v2
	v_dual_mov_b32 v81, v1 :: v_dual_mov_b32 v80, v0
	scratch_load_b64 v[0:1], off, off offset:196 th:TH_LOAD_LU ; 8-byte Folded Reload
	v_fma_f64 v[62:63], v[104:105], s[14:15], v[203:204]
	s_clause 0x1
	scratch_load_b128 v[203:206], off, off offset:20
	scratch_load_b64 v[2:3], off, off offset:276 th:TH_LOAD_LU
	s_wait_loadcnt 0x2
	v_add_f64_e32 v[46:47], v[46:47], v[0:1]
	scratch_load_b64 v[0:1], off, off offset:188 th:TH_LOAD_LU ; 8-byte Folded Reload
	v_add_f64_e32 v[46:47], v[62:63], v[46:47]
	v_fma_f64 v[62:63], v[18:19], s[22:23], v[247:248]
	s_delay_alu instid0(VALU_DEP_1) | instskip(SKIP_1) | instid1(VALU_DEP_1)
	v_add_f64_e32 v[46:47], v[62:63], v[46:47]
	v_fma_f64 v[62:63], v[22:23], s[18:19], v[92:93]
	v_add_f64_e32 v[46:47], v[62:63], v[46:47]
	v_fma_f64 v[62:63], v[26:27], s[6:7], v[66:67]
	v_fma_f64 v[66:67], v[100:101], s[14:15], -v[245:246]
	s_delay_alu instid0(VALU_DEP_2) | instskip(SKIP_2) | instid1(VALU_DEP_1)
	v_add_f64_e32 v[46:47], v[62:63], v[46:47]
	v_fma_f64 v[62:63], v[96:97], s[4:5], -v[173:174]
	s_wait_loadcnt 0x0
	v_add_f64_e32 v[62:63], v[62:63], v[0:1]
	scratch_load_b64 v[0:1], off, off offset:180 th:TH_LOAD_LU ; 8-byte Folded Reload
	v_add_f64_e32 v[62:63], v[66:67], v[62:63]
	s_delay_alu instid0(VALU_DEP_1)
	v_add_f64_e32 v[60:61], v[60:61], v[62:63]
	v_fma_f64 v[62:63], v[20:21], s[18:19], -v[64:65]
	v_fma_f64 v[64:65], v[120:121], s[20:21], -v[76:77]
	v_dual_mov_b32 v79, v7 :: v_dual_mov_b32 v78, v6
	v_dual_mov_b32 v77, v5 :: v_dual_mov_b32 v76, v4
	v_fma_f64 v[6:7], v[120:121], s[22:23], -v[58:59]
	v_fma_f64 v[4:5], v[28:29], s[6:7], -v[231:232]
	v_add_f64_e32 v[60:61], v[62:63], v[60:61]
	v_fma_f64 v[62:63], v[24:25], s[6:7], -v[68:69]
	s_delay_alu instid0(VALU_DEP_1)
	v_add_f64_e32 v[60:61], v[62:63], v[60:61]
	v_fma_f64 v[62:63], v[30:31], s[10:11], v[70:71]
	v_dual_mov_b32 v71, v11 :: v_dual_mov_b32 v70, v10
	v_dual_mov_b32 v69, v9 :: v_dual_mov_b32 v68, v8
	v_fma_f64 v[10:11], v[98:99], s[10:11], v[32:33]
	v_fma_f64 v[32:33], v[22:23], s[6:7], v[149:150]
	v_add_f64_e32 v[46:47], v[62:63], v[46:47]
	v_fma_f64 v[62:63], v[28:29], s[10:11], -v[72:73]
	s_delay_alu instid0(VALU_DEP_1) | instskip(SKIP_3) | instid1(VALU_DEP_4)
	v_add_f64_e32 v[60:61], v[62:63], v[60:61]
	v_fma_f64 v[62:63], v[124:125], s[20:21], v[74:75]
	v_dual_mov_b32 v72, v136 :: v_dual_mov_b32 v73, v137
	v_dual_mov_b32 v74, v138 :: v_dual_mov_b32 v75, v139
	v_add_f64_e32 v[126:127], v[64:65], v[60:61]
	s_delay_alu instid0(VALU_DEP_4)
	v_add_f64_e32 v[128:129], v[62:63], v[46:47]
	v_fma_f64 v[46:47], v[96:97], s[10:11], -v[237:238]
	v_fma_f64 v[60:61], v[104:105], s[4:5], v[169:170]
	s_wait_loadcnt 0x0
	v_add_f64_e32 v[10:11], v[10:11], v[0:1]
	scratch_load_b64 v[0:1], off, off offset:172 th:TH_LOAD_LU ; 8-byte Folded Reload
	v_add_f64_e32 v[10:11], v[60:61], v[10:11]
	v_fma_f64 v[60:61], v[100:101], s[4:5], -v[239:240]
	s_wait_loadcnt 0x0
	v_add_f64_e32 v[46:47], v[46:47], v[0:1]
	scratch_load_b64 v[0:1], off, off offset:148 th:TH_LOAD_LU ; 8-byte Folded Reload
	v_add_f64_e32 v[46:47], v[60:61], v[46:47]
	v_fma_f64 v[60:61], v[18:19], s[14:15], v[241:242]
	s_delay_alu instid0(VALU_DEP_1) | instskip(SKIP_1) | instid1(VALU_DEP_2)
	v_add_f64_e32 v[10:11], v[60:61], v[10:11]
	v_fma_f64 v[60:61], v[16:17], s[14:15], -v[243:244]
	v_add_f64_e32 v[10:11], v[40:41], v[10:11]
	s_delay_alu instid0(VALU_DEP_2) | instskip(SKIP_2) | instid1(VALU_DEP_2)
	v_add_f64_e32 v[46:47], v[60:61], v[46:47]
	v_fma_f64 v[40:41], v[20:21], s[20:21], -v[44:45]
	v_fma_f64 v[44:45], v[26:27], s[22:23], v[48:49]
	v_add_f64_e32 v[40:41], v[40:41], v[46:47]
	s_delay_alu instid0(VALU_DEP_2) | instskip(SKIP_1) | instid1(VALU_DEP_1)
	v_add_f64_e32 v[10:11], v[44:45], v[10:11]
	v_fma_f64 v[44:45], v[24:25], s[22:23], -v[50:51]
	v_add_f64_e32 v[40:41], v[44:45], v[40:41]
	v_fma_f64 v[44:45], v[30:31], s[16:17], v[52:53]
	s_delay_alu instid0(VALU_DEP_1) | instskip(SKIP_4) | instid1(VALU_DEP_4)
	v_add_f64_e32 v[10:11], v[44:45], v[10:11]
	v_fma_f64 v[44:45], v[28:29], s[16:17], -v[54:55]
	v_dual_mov_b32 v55, v15 :: v_dual_mov_b32 v54, v14
	v_dual_mov_b32 v53, v13 :: v_dual_mov_b32 v52, v12
	v_fma_f64 v[14:15], v[24:25], s[14:15], -v[88:89]
	v_add_f64_e32 v[40:41], v[44:45], v[40:41]
	v_fma_f64 v[44:45], v[124:125], s[6:7], v[56:57]
	s_delay_alu instid0(VALU_DEP_2) | instskip(NEXT) | instid1(VALU_DEP_2)
	v_add_f64_e32 v[130:131], v[42:43], v[40:41]
	v_add_f64_e32 v[132:133], v[44:45], v[10:11]
	v_fma_f64 v[10:11], v[98:99], s[16:17], v[183:184]
	v_fma_f64 v[40:41], v[96:97], s[16:17], -v[171:172]
	v_fma_f64 v[42:43], v[104:105], s[10:11], v[253:254]
	s_wait_loadcnt 0x0
	s_delay_alu instid0(VALU_DEP_3)
	v_add_f64_e32 v[10:11], v[10:11], v[0:1]
	scratch_load_b64 v[0:1], off, off offset:140 th:TH_LOAD_LU ; 8-byte Folded Reload
	v_add_f64_e32 v[10:11], v[42:43], v[10:11]
	v_fma_f64 v[42:43], v[100:101], s[10:11], -v[167:168]
	s_wait_loadcnt 0x0
	v_add_f64_e32 v[40:41], v[40:41], v[0:1]
	v_fma_f64 v[0:1], v[18:19], s[4:5], v[187:188]
	s_delay_alu instid0(VALU_DEP_2) | instskip(NEXT) | instid1(VALU_DEP_2)
	v_add_f64_e32 v[40:41], v[42:43], v[40:41]
	v_add_f64_e32 v[0:1], v[0:1], v[10:11]
	v_fma_f64 v[10:11], v[16:17], s[4:5], -v[185:186]
	s_delay_alu instid0(VALU_DEP_2) | instskip(NEXT) | instid1(VALU_DEP_2)
	v_add_f64_e32 v[0:1], v[32:33], v[0:1]
	v_add_f64_e32 v[10:11], v[10:11], v[40:41]
	v_fma_f64 v[32:33], v[20:21], s[6:7], -v[221:222]
	v_dual_mov_b32 v222, v37 :: v_dual_mov_b32 v221, v36
	v_dual_mov_b32 v220, v35 :: v_dual_mov_b32 v219, v34
	s_delay_alu instid0(VALU_DEP_3) | instskip(SKIP_1) | instid1(VALU_DEP_2)
	v_add_f64_e32 v[10:11], v[32:33], v[10:11]
	v_fma_f64 v[32:33], v[26:27], s[14:15], v[147:148]
	v_add_f64_e32 v[10:11], v[14:15], v[10:11]
	s_delay_alu instid0(VALU_DEP_2) | instskip(SKIP_1) | instid1(VALU_DEP_1)
	v_add_f64_e32 v[0:1], v[32:33], v[0:1]
	v_fma_f64 v[14:15], v[30:31], s[18:19], v[38:39]
	v_add_f64_e32 v[0:1], v[14:15], v[0:1]
	v_fma_f64 v[14:15], v[28:29], s[18:19], -v[90:91]
	s_delay_alu instid0(VALU_DEP_1)
	v_add_f64_e32 v[10:11], v[14:15], v[10:11]
	v_fma_f64 v[14:15], v[124:125], s[22:23], v[233:234]
	v_mov_b32_e32 v233, v255
	v_mov_b32_e32 v255, v140
	scratch_load_b32 v140, off, off offset:68 ; 4-byte Folded Reload
	v_add_f64_e32 v[92:93], v[6:7], v[10:11]
	v_add_f64_e32 v[94:95], v[14:15], v[0:1]
	scratch_load_b64 v[0:1], off, off offset:268 th:TH_LOAD_LU ; 8-byte Folded Reload
	v_fma_f64 v[6:7], v[96:97], s[20:21], -v[2:3]
	scratch_load_b64 v[2:3], off, off offset:284 th:TH_LOAD_LU ; 8-byte Folded Reload
	s_wait_loadcnt 0x0
	v_fma_f64 v[10:11], v[104:105], s[18:19], v[2:3]
	scratch_load_b64 v[2:3], off, off offset:132 th:TH_LOAD_LU ; 8-byte Folded Reload
	v_fma_f64 v[0:1], v[98:99], s[20:21], v[0:1]
	s_wait_loadcnt 0x0
	s_delay_alu instid0(VALU_DEP_1)
	v_add_f64_e32 v[0:1], v[0:1], v[2:3]
	scratch_load_b64 v[2:3], off, off offset:292 th:TH_LOAD_LU ; 8-byte Folded Reload
	v_add_f64_e32 v[0:1], v[10:11], v[0:1]
	s_wait_loadcnt 0x0
	v_fma_f64 v[14:15], v[100:101], s[18:19], -v[2:3]
	scratch_load_b64 v[2:3], off, off offset:124 th:TH_LOAD_LU ; 8-byte Folded Reload
	s_wait_loadcnt 0x0
	v_add_f64_e32 v[6:7], v[6:7], v[2:3]
	scratch_load_b64 v[2:3], off, off offset:300 th:TH_LOAD_LU ; 8-byte Folded Reload
	v_add_f64_e32 v[6:7], v[14:15], v[6:7]
	s_wait_loadcnt 0x0
	v_fma_f64 v[18:19], v[18:19], s[16:17], v[2:3]
	scratch_load_b64 v[2:3], off, off offset:308 th:TH_LOAD_LU ; 8-byte Folded Reload
	v_add_f64_e32 v[0:1], v[18:19], v[0:1]
	s_wait_loadcnt 0x0
	v_fma_f64 v[10:11], v[16:17], s[16:17], -v[2:3]
	scratch_load_b64 v[2:3], off, off offset:316 th:TH_LOAD_LU ; 8-byte Folded Reload
	v_add_f64_e32 v[6:7], v[10:11], v[6:7]
	s_wait_loadcnt 0x0
	v_fma_f64 v[14:15], v[22:23], s[14:15], v[2:3]
	scratch_load_b64 v[2:3], off, off offset:324 th:TH_LOAD_LU ; 8-byte Folded Reload
	v_add_f64_e32 v[0:1], v[14:15], v[0:1]
	s_wait_loadcnt 0x0
	v_fma_f64 v[12:13], v[20:21], s[14:15], -v[2:3]
	scratch_load_b64 v[2:3], off, off offset:332 th:TH_LOAD_LU ; 8-byte Folded Reload
	v_add_f64_e32 v[6:7], v[12:13], v[6:7]
	s_wait_loadcnt 0x0
	v_fma_f64 v[10:11], v[26:27], s[10:11], v[2:3]
	scratch_load_b64 v[2:3], off, off offset:340 th:TH_LOAD_LU ; 8-byte Folded Reload
	v_add_f64_e32 v[0:1], v[10:11], v[0:1]
	s_wait_loadcnt 0x0
	v_fma_f64 v[8:9], v[24:25], s[10:11], -v[2:3]
	s_clause 0x2
	scratch_load_b64 v[2:3], off, off offset:348 th:TH_LOAD_LU
	scratch_load_b32 v232, off, off offset:60
	scratch_load_b32 v231, off, off offset:52
	v_add_f64_e32 v[6:7], v[8:9], v[6:7]
	v_fma_f64 v[8:9], v[124:125], s[4:5], v[235:236]
	s_delay_alu instid0(VALU_DEP_2) | instskip(SKIP_3) | instid1(VALU_DEP_2)
	v_add_f64_e32 v[4:5], v[4:5], v[6:7]
	s_wait_loadcnt 0x2
	v_fma_f64 v[12:13], v[30:31], s[6:7], v[2:3]
	v_fma_f64 v[2:3], v[120:121], s[4:5], -v[189:190]
	v_add_f64_e32 v[0:1], v[12:13], v[0:1]
	s_delay_alu instid0(VALU_DEP_2) | instskip(NEXT) | instid1(VALU_DEP_2)
	v_add_f64_e32 v[16:17], v[2:3], v[4:5]
	v_add_f64_e32 v[18:19], v[8:9], v[0:1]
	s_clause 0x1
	scratch_load_b32 v0, off, off offset:16 th:TH_LOAD_LU
	scratch_load_b32 v1, off, off offset:4 th:TH_LOAD_LU
	s_wait_loadcnt 0x1
	v_and_b32_e32 v0, 0xffff, v0
	s_wait_loadcnt 0x0
	s_delay_alu instid0(VALU_DEP_1)
	v_lshl_add_u32 v0, v0, 4, v1
	scratch_load_b128 v[1:4], off, off offset:76 th:TH_LOAD_LU ; 16-byte Folded Reload
	s_wait_loadcnt 0x0
	ds_store_b128 v0, v[1:4]
	ds_store_b128 v0, v[151:154] offset:16
	ds_store_b128 v0, v[155:158] offset:32
	;; [unrolled: 1-line block ×6, first 2 shown]
	scratch_load_b128 v[1:4], off, off offset:204 th:TH_LOAD_LU ; 16-byte Folded Reload
	s_wait_loadcnt 0x0
	ds_store_b128 v0, v[1:4] offset:112
	scratch_load_b128 v[1:4], off, off offset:108 th:TH_LOAD_LU ; 16-byte Folded Reload
	s_wait_loadcnt 0x0
	ds_store_b128 v0, v[1:4] offset:128
	;; [unrolled: 3-line block ×5, first 2 shown]
	ds_store_b128 v0, v[114:117] offset:192
	ds_store_b128 v0, v[126:129] offset:208
	;; [unrolled: 1-line block ×5, first 2 shown]
.LBB0_13:
	s_or_b32 exec_lo, exec_lo, s33
	global_wb scope:SCOPE_SE
	s_wait_storecnt_dscnt 0x0
	s_barrier_signal -1
	s_barrier_wait -1
	global_inv scope:SCOPE_SE
	ds_load_b128 v[0:3], v142 offset:2448
	ds_load_b128 v[4:7], v142 offset:4896
	;; [unrolled: 1-line block ×7, first 2 shown]
	s_mov_b32 s4, 0xe8584caa
	s_mov_b32 s5, 0xbfebb67a
	s_mov_b32 s7, 0x3febb67a
	s_wait_alu 0xfffe
	s_mov_b32 s6, s4
	s_mov_b32 s10, 0x8c811c17
	;; [unrolled: 1-line block ×7, first 2 shown]
	s_wait_dscnt 0x6
	v_mul_f64_e32 v[28:29], v[213:214], v[2:3]
	s_wait_dscnt 0x5
	v_mul_f64_e32 v[30:31], v[209:210], v[6:7]
	v_mul_f64_e32 v[32:33], v[213:214], v[0:1]
	v_mul_f64_e32 v[34:35], v[209:210], v[4:5]
	s_wait_dscnt 0x4
	v_mul_f64_e32 v[36:37], v[205:206], v[10:11]
	s_wait_dscnt 0x3
	v_mul_f64_e32 v[38:39], v[54:55], v[14:15]
	v_mul_f64_e32 v[40:41], v[205:206], v[8:9]
	v_mul_f64_e32 v[42:43], v[54:55], v[12:13]
	;; [unrolled: 6-line block ×3, first 2 shown]
	v_fma_f64 v[28:29], v[211:212], v[0:1], v[28:29]
	v_fma_f64 v[30:31], v[207:208], v[4:5], v[30:31]
	v_fma_f64 v[32:33], v[211:212], v[2:3], -v[32:33]
	v_fma_f64 v[34:35], v[207:208], v[6:7], -v[34:35]
	v_fma_f64 v[8:9], v[203:204], v[8:9], v[36:37]
	v_fma_f64 v[12:13], v[52:53], v[12:13], v[38:39]
	v_fma_f64 v[10:11], v[203:204], v[10:11], -v[40:41]
	v_fma_f64 v[14:15], v[52:53], v[14:15], -v[42:43]
	;; [unrolled: 4-line block ×3, first 2 shown]
	ds_load_b128 v[0:3], v142
	ds_load_b128 v[4:7], v142 offset:816
	global_wb scope:SCOPE_SE
	s_wait_dscnt 0x0
	s_barrier_signal -1
	s_barrier_wait -1
	global_inv scope:SCOPE_SE
	v_add_f64_e32 v[48:49], v[0:1], v[28:29]
	v_add_f64_e32 v[36:37], v[28:29], v[30:31]
	v_add_f64_e64 v[28:29], v[28:29], -v[30:31]
	v_add_f64_e32 v[38:39], v[32:33], v[34:35]
	v_add_f64_e64 v[50:51], v[32:33], -v[34:35]
	v_add_f64_e32 v[40:41], v[8:9], v[12:13]
	v_add_f64_e32 v[32:33], v[2:3], v[32:33]
	v_add_f64_e32 v[42:43], v[10:11], v[14:15]
	v_add_f64_e32 v[52:53], v[4:5], v[8:9]
	v_add_f64_e32 v[44:45], v[16:17], v[20:21]
	v_add_f64_e32 v[54:55], v[6:7], v[10:11]
	v_add_f64_e32 v[46:47], v[18:19], v[22:23]
	v_add_f64_e32 v[56:57], v[24:25], v[16:17]
	v_add_f64_e32 v[58:59], v[26:27], v[18:19]
	v_add_f64_e64 v[60:61], v[10:11], -v[14:15]
	v_add_f64_e64 v[62:63], v[8:9], -v[12:13]
	;; [unrolled: 1-line block ×4, first 2 shown]
	v_fma_f64 v[36:37], v[36:37], -0.5, v[0:1]
	v_add_f64_e32 v[0:1], v[48:49], v[30:31]
	v_fma_f64 v[38:39], v[38:39], -0.5, v[2:3]
	v_fma_f64 v[40:41], v[40:41], -0.5, v[4:5]
	v_add_f64_e32 v[2:3], v[32:33], v[34:35]
	v_fma_f64 v[42:43], v[42:43], -0.5, v[6:7]
	v_add_f64_e32 v[4:5], v[52:53], v[12:13]
	;; [unrolled: 2-line block ×4, first 2 shown]
	v_add_f64_e32 v[10:11], v[58:59], v[22:23]
	v_fma_f64 v[12:13], v[50:51], s[4:5], v[36:37]
	s_wait_alu 0xfffe
	v_fma_f64 v[16:17], v[50:51], s[6:7], v[36:37]
	v_fma_f64 v[14:15], v[28:29], s[6:7], v[38:39]
	v_fma_f64 v[18:19], v[28:29], s[4:5], v[38:39]
	v_fma_f64 v[20:21], v[60:61], s[4:5], v[40:41]
	v_fma_f64 v[24:25], v[60:61], s[6:7], v[40:41]
	v_fma_f64 v[22:23], v[62:63], s[6:7], v[42:43]
	v_fma_f64 v[26:27], v[62:63], s[4:5], v[42:43]
	v_fma_f64 v[28:29], v[64:65], s[4:5], v[44:45]
	v_fma_f64 v[32:33], v[64:65], s[6:7], v[44:45]
	v_fma_f64 v[30:31], v[66:67], s[6:7], v[46:47]
	v_fma_f64 v[34:35], v[66:67], s[4:5], v[46:47]
	s_mov_b32 s6, 0xe8584cab
	ds_store_b128 v233, v[0:3]
	ds_store_b128 v233, v[12:15] offset:272
	ds_store_b128 v233, v[16:19] offset:544
	ds_store_b128 v232, v[4:7]
	ds_store_b128 v232, v[20:23] offset:272
	ds_store_b128 v232, v[24:27] offset:544
	;; [unrolled: 3-line block ×3, first 2 shown]
	global_wb scope:SCOPE_SE
	s_wait_dscnt 0x0
	s_barrier_signal -1
	s_barrier_wait -1
	global_inv scope:SCOPE_SE
	ds_load_b128 v[0:3], v142 offset:816
	ds_load_b128 v[4:7], v142 offset:6528
	;; [unrolled: 1-line block ×7, first 2 shown]
	s_wait_alu 0xfffe
	s_mov_b32 s4, s6
	s_wait_dscnt 0x6
	v_mul_f64_e32 v[28:29], v[78:79], v[2:3]
	v_mul_f64_e32 v[30:31], v[78:79], v[0:1]
	s_wait_dscnt 0x5
	v_mul_f64_e32 v[32:33], v[86:87], v[6:7]
	v_mul_f64_e32 v[34:35], v[86:87], v[4:5]
	;; [unrolled: 3-line block ×6, first 2 shown]
	v_fma_f64 v[28:29], v[76:77], v[0:1], v[28:29]
	v_fma_f64 v[30:31], v[76:77], v[2:3], -v[30:31]
	v_fma_f64 v[4:5], v[84:85], v[4:5], v[32:33]
	v_fma_f64 v[6:7], v[84:85], v[6:7], -v[34:35]
	;; [unrolled: 2-line block ×6, first 2 shown]
	ds_load_b128 v[0:3], v142 offset:4896
	s_wait_dscnt 0x1
	v_mul_f64_e32 v[32:33], v[74:75], v[26:27]
	v_mul_f64_e32 v[34:35], v[74:75], v[24:25]
	v_add_f64_e64 v[40:41], v[28:29], -v[4:5]
	v_add_f64_e64 v[42:43], v[30:31], -v[6:7]
	v_add_f64_e32 v[28:29], v[28:29], v[4:5]
	v_add_f64_e32 v[30:31], v[30:31], v[6:7]
	ds_load_b128 v[4:7], v142
	s_wait_dscnt 0x1
	v_mul_f64_e32 v[36:37], v[70:71], v[2:3]
	v_mul_f64_e32 v[38:39], v[70:71], v[0:1]
	v_add_f64_e32 v[44:45], v[8:9], v[12:13]
	v_add_f64_e32 v[46:47], v[10:11], v[14:15]
	v_add_f64_e64 v[48:49], v[8:9], -v[12:13]
	v_add_f64_e64 v[50:51], v[10:11], -v[14:15]
	v_add_f64_e32 v[52:53], v[16:17], v[20:21]
	v_add_f64_e32 v[54:55], v[18:19], v[22:23]
	v_fma_f64 v[24:25], v[72:73], v[24:25], v[32:33]
	v_fma_f64 v[26:27], v[72:73], v[26:27], -v[34:35]
	v_add_f64_e64 v[16:17], v[16:17], -v[20:21]
	v_add_f64_e64 v[18:19], v[18:19], -v[22:23]
	v_mul_f64_e32 v[20:21], s[14:15], v[40:41]
	v_mul_f64_e32 v[22:23], s[14:15], v[42:43]
	s_wait_dscnt 0x0
	v_fma_f64 v[32:33], v[28:29], s[16:17], v[4:5]
	s_mov_b32 s15, 0xbfe491b7
	v_fma_f64 v[66:67], v[30:31], s[16:17], v[6:7]
	v_fma_f64 v[0:1], v[68:69], v[0:1], v[36:37]
	v_fma_f64 v[2:3], v[68:69], v[2:3], -v[38:39]
	v_fma_f64 v[34:35], v[44:45], s[16:17], v[4:5]
	v_fma_f64 v[36:37], v[46:47], s[16:17], v[6:7]
	v_mul_f64_e32 v[38:39], s[10:11], v[48:49]
	v_mul_f64_e32 v[56:57], s[10:11], v[50:51]
	v_fma_f64 v[58:59], v[52:53], s[16:17], v[4:5]
	v_fma_f64 v[60:61], v[54:55], s[16:17], v[6:7]
	s_wait_alu 0xfffe
	v_mul_f64_e32 v[62:63], s[14:15], v[50:51]
	v_mul_f64_e32 v[64:65], s[14:15], v[48:49]
	v_add_f64_e32 v[72:73], v[52:53], v[28:29]
	v_add_f64_e32 v[74:75], v[54:55], v[30:31]
	s_mov_b32 s16, 0x7e0b738b
	s_mov_b32 s17, 0x3fc63a1a
	v_fma_f64 v[20:21], v[16:17], s[10:11], v[20:21]
	v_fma_f64 v[22:23], v[18:19], s[10:11], v[22:23]
	v_add_f64_e32 v[68:69], v[24:25], v[0:1]
	v_add_f64_e32 v[70:71], v[26:27], v[2:3]
	v_add_f64_e64 v[0:1], v[24:25], -v[0:1]
	v_add_f64_e64 v[2:3], v[26:27], -v[2:3]
	s_wait_alu 0xfffe
	v_fma_f64 v[24:25], v[52:53], s[16:17], v[32:33]
	v_fma_f64 v[26:27], v[28:29], s[16:17], v[34:35]
	;; [unrolled: 1-line block ×3, first 2 shown]
	v_fma_f64 v[34:35], v[16:17], s[14:15], -v[38:39]
	v_fma_f64 v[36:37], v[18:19], s[14:15], -v[56:57]
	v_fma_f64 v[38:39], v[44:45], s[16:17], v[58:59]
	v_fma_f64 v[56:57], v[46:47], s[16:17], v[60:61]
	;; [unrolled: 1-line block ×5, first 2 shown]
	v_add_f64_e32 v[80:81], v[44:45], v[72:73]
	v_add_f64_e32 v[82:83], v[46:47], v[74:75]
	;; [unrolled: 1-line block ×4, first 2 shown]
	s_mov_b32 s10, 0x748a0bf8
	s_mov_b32 s14, 0x42522d1b
	s_mov_b32 s11, 0x3fd5e3a8
	s_mov_b32 s15, 0xbfee11f6
	v_add_f64_e32 v[72:73], v[68:69], v[72:73]
	v_add_f64_e32 v[74:75], v[70:71], v[74:75]
	v_fma_f64 v[20:21], v[0:1], s[6:7], v[20:21]
	v_fma_f64 v[22:23], v[2:3], s[6:7], v[22:23]
	v_fma_f64 v[24:25], v[68:69], -0.5, v[24:25]
	v_fma_f64 v[26:27], v[68:69], -0.5, v[26:27]
	;; [unrolled: 1-line block ×3, first 2 shown]
	v_fma_f64 v[34:35], v[0:1], s[6:7], v[34:35]
	v_fma_f64 v[36:37], v[2:3], s[6:7], v[36:37]
	v_fma_f64 v[38:39], v[68:69], -0.5, v[38:39]
	v_fma_f64 v[56:57], v[70:71], -0.5, v[56:57]
	v_add_f64_e32 v[76:77], v[4:5], v[68:69]
	v_add_f64_e32 v[78:79], v[6:7], v[70:71]
	v_fma_f64 v[2:3], v[2:3], s[4:5], v[58:59]
	v_fma_f64 v[0:1], v[0:1], s[4:5], v[60:61]
	v_fma_f64 v[58:59], v[70:71], -0.5, v[62:63]
	v_add_f64_e64 v[60:61], v[64:65], -v[16:17]
	v_add_f64_e64 v[62:63], v[66:67], -v[18:19]
	v_add_f64_e32 v[8:9], v[8:9], v[72:73]
	v_add_f64_e32 v[10:11], v[10:11], v[74:75]
	s_wait_alu 0xfffe
	v_fma_f64 v[48:49], v[48:49], s[10:11], v[20:21]
	v_fma_f64 v[50:51], v[50:51], s[10:11], v[22:23]
	;; [unrolled: 1-line block ×9, first 2 shown]
	v_fma_f64 v[64:65], v[80:81], -0.5, v[76:77]
	v_fma_f64 v[66:67], v[82:83], -0.5, v[78:79]
	v_fma_f64 v[34:35], v[18:19], s[10:11], v[2:3]
	v_fma_f64 v[36:37], v[16:17], s[10:11], v[0:1]
	;; [unrolled: 1-line block ×3, first 2 shown]
	v_mul_f64_e32 v[40:41], s[6:7], v[60:61]
	v_mul_f64_e32 v[42:43], s[6:7], v[62:63]
	v_add_f64_e32 v[44:45], v[12:13], v[8:9]
	v_add_f64_e32 v[46:47], v[14:15], v[10:11]
	v_add_f64_e64 v[8:9], v[20:21], -v[50:51]
	v_add_f64_e64 v[12:13], v[28:29], -v[32:33]
	v_add_f64_e32 v[14:15], v[26:27], v[30:31]
	v_fma_f64 v[0:1], v[62:63], s[4:5], v[64:65]
	v_fma_f64 v[2:3], v[60:61], s[6:7], v[66:67]
	v_add_f64_e64 v[16:17], v[22:23], -v[34:35]
	v_add_f64_e32 v[18:19], v[36:37], v[24:25]
	v_add_f64_e32 v[10:11], v[48:49], v[38:39]
	s_and_b32 s4, exec_lo, vcc_lo
	v_add_f64_e32 v[4:5], v[4:5], v[44:45]
	v_add_f64_e32 v[6:7], v[6:7], v[46:47]
	v_fma_f64 v[24:25], v[50:51], 2.0, v[8:9]
	v_fma_f64 v[28:29], v[32:33], 2.0, v[12:13]
	v_fma_f64 v[30:31], v[26:27], -2.0, v[14:15]
	v_fma_f64 v[20:21], v[42:43], 2.0, v[0:1]
	v_fma_f64 v[22:23], v[40:41], -2.0, v[2:3]
	;; [unrolled: 2-line block ×3, first 2 shown]
	v_fma_f64 v[26:27], v[48:49], -2.0, v[10:11]
	ds_store_b128 v140, v[4:7]
	ds_store_b128 v141, v[0:3] offset:2448
	ds_store_b128 v141, v[12:15] offset:3264
	;; [unrolled: 1-line block ×8, first 2 shown]
	global_wb scope:SCOPE_SE
	s_wait_dscnt 0x0
	s_barrier_signal -1
	s_barrier_wait -1
	global_inv scope:SCOPE_SE
	scratch_load_b64 v[14:15], off, off offset:8 ; 8-byte Folded Reload
	s_wait_alu 0xfffe
	s_mov_b32 exec_lo, s4
	s_cbranch_execz .LBB0_15
; %bb.14:
	global_load_b128 v[0:3], v255, s[8:9]
	ds_load_b128 v[4:7], v140
	ds_load_b128 v[8:11], v141 offset:432
	scratch_load_b32 v15, off, off th:TH_LOAD_LU ; 4-byte Folded Reload
	s_mov_b32 s4, 0x672e4abd
	s_mov_b32 s5, 0x3f61d8f5
	s_wait_loadcnt_dscnt 0x101
	v_mul_f64_e32 v[12:13], v[6:7], v[2:3]
	v_mul_f64_e32 v[2:3], v[4:5], v[2:3]
	s_delay_alu instid0(VALU_DEP_2) | instskip(NEXT) | instid1(VALU_DEP_2)
	v_fma_f64 v[4:5], v[4:5], v[0:1], v[12:13]
	v_fma_f64 v[2:3], v[0:1], v[6:7], -v[2:3]
	v_mad_co_u64_u32 v[6:7], null, s2, v14, 0
	s_wait_loadcnt 0x0
	v_mad_co_u64_u32 v[12:13], null, s0, v15, 0
	s_wait_alu 0xfffe
	s_delay_alu instid0(VALU_DEP_4) | instskip(NEXT) | instid1(VALU_DEP_4)
	v_mul_f64_e32 v[0:1], s[4:5], v[4:5]
	v_mul_f64_e32 v[2:3], s[4:5], v[2:3]
	s_delay_alu instid0(VALU_DEP_3) | instskip(NEXT) | instid1(VALU_DEP_1)
	v_dual_mov_b32 v4, v7 :: v_dual_mov_b32 v5, v13
	v_mad_co_u64_u32 v[13:14], null, s3, v14, v[4:5]
	v_mad_co_u64_u32 v[4:5], null, s1, v15, v[5:6]
	s_mul_u64 s[0:1], s[0:1], 0x1b0
	s_delay_alu instid0(VALU_DEP_2) | instskip(NEXT) | instid1(VALU_DEP_2)
	v_mov_b32_e32 v7, v13
	v_mov_b32_e32 v13, v4
	s_delay_alu instid0(VALU_DEP_2) | instskip(NEXT) | instid1(VALU_DEP_2)
	v_lshlrev_b64_e32 v[4:5], 4, v[6:7]
	v_lshlrev_b64_e32 v[6:7], 4, v[12:13]
	s_delay_alu instid0(VALU_DEP_2) | instskip(NEXT) | instid1(VALU_DEP_3)
	v_add_co_u32 v4, vcc_lo, s12, v4
	v_add_co_ci_u32_e32 v5, vcc_lo, s13, v5, vcc_lo
	s_delay_alu instid0(VALU_DEP_2) | instskip(SKIP_1) | instid1(VALU_DEP_2)
	v_add_co_u32 v4, vcc_lo, v4, v6
	s_wait_alu 0xfffd
	v_add_co_ci_u32_e32 v5, vcc_lo, v5, v7, vcc_lo
	s_wait_alu 0xfffe
	s_delay_alu instid0(VALU_DEP_2)
	v_add_co_u32 v12, vcc_lo, v4, s0
	global_store_b128 v[4:5], v[0:3], off
	global_load_b128 v[0:3], v255, s[8:9] offset:432
	s_wait_alu 0xfffd
	v_add_co_ci_u32_e32 v13, vcc_lo, s1, v5, vcc_lo
	s_wait_loadcnt_dscnt 0x0
	v_mul_f64_e32 v[6:7], v[10:11], v[2:3]
	v_mul_f64_e32 v[2:3], v[8:9], v[2:3]
	s_delay_alu instid0(VALU_DEP_2) | instskip(NEXT) | instid1(VALU_DEP_2)
	v_fma_f64 v[6:7], v[8:9], v[0:1], v[6:7]
	v_fma_f64 v[2:3], v[0:1], v[10:11], -v[2:3]
	s_delay_alu instid0(VALU_DEP_2) | instskip(NEXT) | instid1(VALU_DEP_2)
	v_mul_f64_e32 v[0:1], s[4:5], v[6:7]
	v_mul_f64_e32 v[2:3], s[4:5], v[2:3]
	global_store_b128 v[12:13], v[0:3], off
	global_load_b128 v[0:3], v255, s[8:9] offset:864
	ds_load_b128 v[4:7], v141 offset:864
	ds_load_b128 v[8:11], v141 offset:1296
	s_wait_loadcnt_dscnt 0x1
	v_mul_f64_e32 v[14:15], v[6:7], v[2:3]
	v_mul_f64_e32 v[2:3], v[4:5], v[2:3]
	s_delay_alu instid0(VALU_DEP_2) | instskip(NEXT) | instid1(VALU_DEP_2)
	v_fma_f64 v[4:5], v[4:5], v[0:1], v[14:15]
	v_fma_f64 v[2:3], v[0:1], v[6:7], -v[2:3]
	s_delay_alu instid0(VALU_DEP_2) | instskip(NEXT) | instid1(VALU_DEP_2)
	v_mul_f64_e32 v[0:1], s[4:5], v[4:5]
	v_mul_f64_e32 v[2:3], s[4:5], v[2:3]
	v_add_co_u32 v4, vcc_lo, v12, s0
	s_wait_alu 0xfffd
	v_add_co_ci_u32_e32 v5, vcc_lo, s1, v13, vcc_lo
	s_delay_alu instid0(VALU_DEP_2) | instskip(SKIP_1) | instid1(VALU_DEP_2)
	v_add_co_u32 v12, vcc_lo, v4, s0
	s_wait_alu 0xfffd
	v_add_co_ci_u32_e32 v13, vcc_lo, s1, v5, vcc_lo
	global_store_b128 v[4:5], v[0:3], off
	global_load_b128 v[0:3], v255, s[8:9] offset:1296
	s_wait_loadcnt_dscnt 0x0
	v_mul_f64_e32 v[6:7], v[10:11], v[2:3]
	v_mul_f64_e32 v[2:3], v[8:9], v[2:3]
	s_delay_alu instid0(VALU_DEP_2) | instskip(NEXT) | instid1(VALU_DEP_2)
	v_fma_f64 v[6:7], v[8:9], v[0:1], v[6:7]
	v_fma_f64 v[2:3], v[0:1], v[10:11], -v[2:3]
	s_delay_alu instid0(VALU_DEP_2) | instskip(NEXT) | instid1(VALU_DEP_2)
	v_mul_f64_e32 v[0:1], s[4:5], v[6:7]
	v_mul_f64_e32 v[2:3], s[4:5], v[2:3]
	global_store_b128 v[12:13], v[0:3], off
	global_load_b128 v[0:3], v255, s[8:9] offset:1728
	ds_load_b128 v[4:7], v141 offset:1728
	ds_load_b128 v[8:11], v141 offset:2160
	s_wait_loadcnt_dscnt 0x1
	v_mul_f64_e32 v[14:15], v[6:7], v[2:3]
	v_mul_f64_e32 v[2:3], v[4:5], v[2:3]
	s_delay_alu instid0(VALU_DEP_2) | instskip(NEXT) | instid1(VALU_DEP_2)
	v_fma_f64 v[4:5], v[4:5], v[0:1], v[14:15]
	v_fma_f64 v[2:3], v[0:1], v[6:7], -v[2:3]
	s_delay_alu instid0(VALU_DEP_2) | instskip(NEXT) | instid1(VALU_DEP_2)
	v_mul_f64_e32 v[0:1], s[4:5], v[4:5]
	v_mul_f64_e32 v[2:3], s[4:5], v[2:3]
	v_add_co_u32 v4, vcc_lo, v12, s0
	s_wait_alu 0xfffd
	v_add_co_ci_u32_e32 v5, vcc_lo, s1, v13, vcc_lo
	s_delay_alu instid0(VALU_DEP_2) | instskip(SKIP_1) | instid1(VALU_DEP_2)
	v_add_co_u32 v12, vcc_lo, v4, s0
	s_wait_alu 0xfffd
	v_add_co_ci_u32_e32 v13, vcc_lo, s1, v5, vcc_lo
	global_store_b128 v[4:5], v[0:3], off
	global_load_b128 v[0:3], v255, s[8:9] offset:2160
	;; [unrolled: 31-line block ×6, first 2 shown]
	s_wait_loadcnt_dscnt 0x0
	v_mul_f64_e32 v[6:7], v[10:11], v[2:3]
	v_mul_f64_e32 v[2:3], v[8:9], v[2:3]
	s_delay_alu instid0(VALU_DEP_2) | instskip(NEXT) | instid1(VALU_DEP_2)
	v_fma_f64 v[6:7], v[8:9], v[0:1], v[6:7]
	v_fma_f64 v[2:3], v[0:1], v[10:11], -v[2:3]
	s_delay_alu instid0(VALU_DEP_2) | instskip(NEXT) | instid1(VALU_DEP_2)
	v_mul_f64_e32 v[0:1], s[4:5], v[6:7]
	v_mul_f64_e32 v[2:3], s[4:5], v[2:3]
	global_store_b128 v[12:13], v[0:3], off
	global_load_b128 v[0:3], v255, s[8:9] offset:6048
	ds_load_b128 v[4:7], v141 offset:6048
	ds_load_b128 v[8:11], v141 offset:6480
	s_wait_loadcnt_dscnt 0x1
	v_mul_f64_e32 v[14:15], v[6:7], v[2:3]
	v_mul_f64_e32 v[2:3], v[4:5], v[2:3]
	s_delay_alu instid0(VALU_DEP_2) | instskip(NEXT) | instid1(VALU_DEP_2)
	v_fma_f64 v[4:5], v[4:5], v[0:1], v[14:15]
	v_fma_f64 v[2:3], v[0:1], v[6:7], -v[2:3]
	s_delay_alu instid0(VALU_DEP_2) | instskip(NEXT) | instid1(VALU_DEP_2)
	v_mul_f64_e32 v[0:1], s[4:5], v[4:5]
	v_mul_f64_e32 v[2:3], s[4:5], v[2:3]
	v_add_co_u32 v4, vcc_lo, v12, s0
	s_wait_alu 0xfffd
	v_add_co_ci_u32_e32 v5, vcc_lo, s1, v13, vcc_lo
	global_store_b128 v[4:5], v[0:3], off
	global_load_b128 v[0:3], v255, s[8:9] offset:6480
	s_wait_loadcnt_dscnt 0x0
	v_mul_f64_e32 v[6:7], v[10:11], v[2:3]
	v_mul_f64_e32 v[2:3], v[8:9], v[2:3]
	s_delay_alu instid0(VALU_DEP_2) | instskip(NEXT) | instid1(VALU_DEP_2)
	v_fma_f64 v[6:7], v[8:9], v[0:1], v[6:7]
	v_fma_f64 v[2:3], v[0:1], v[10:11], -v[2:3]
	v_add_co_u32 v8, vcc_lo, v4, s0
	s_wait_alu 0xfffd
	v_add_co_ci_u32_e32 v9, vcc_lo, s1, v5, vcc_lo
	s_delay_alu instid0(VALU_DEP_4) | instskip(NEXT) | instid1(VALU_DEP_4)
	v_mul_f64_e32 v[0:1], s[4:5], v[6:7]
	v_mul_f64_e32 v[2:3], s[4:5], v[2:3]
	ds_load_b128 v[4:7], v141 offset:6912
	global_store_b128 v[8:9], v[0:3], off
	global_load_b128 v[0:3], v255, s[8:9] offset:6912
	s_wait_loadcnt_dscnt 0x0
	v_mul_f64_e32 v[10:11], v[6:7], v[2:3]
	v_mul_f64_e32 v[2:3], v[4:5], v[2:3]
	s_delay_alu instid0(VALU_DEP_2) | instskip(NEXT) | instid1(VALU_DEP_2)
	v_fma_f64 v[4:5], v[4:5], v[0:1], v[10:11]
	v_fma_f64 v[2:3], v[0:1], v[6:7], -v[2:3]
	s_delay_alu instid0(VALU_DEP_2) | instskip(NEXT) | instid1(VALU_DEP_2)
	v_mul_f64_e32 v[0:1], s[4:5], v[4:5]
	v_mul_f64_e32 v[2:3], s[4:5], v[2:3]
	v_add_co_u32 v4, vcc_lo, v8, s0
	s_wait_alu 0xfffd
	v_add_co_ci_u32_e32 v5, vcc_lo, s1, v9, vcc_lo
	global_store_b128 v[4:5], v[0:3], off
.LBB0_15:
	s_nop 0
	s_sendmsg sendmsg(MSG_DEALLOC_VGPRS)
	s_endpgm
	.section	.rodata,"a",@progbits
	.p2align	6, 0x0
	.amdhsa_kernel bluestein_single_fwd_len459_dim1_dp_op_CI_CI
		.amdhsa_group_segment_fixed_size 36720
		.amdhsa_private_segment_fixed_size 664
		.amdhsa_kernarg_size 104
		.amdhsa_user_sgpr_count 2
		.amdhsa_user_sgpr_dispatch_ptr 0
		.amdhsa_user_sgpr_queue_ptr 0
		.amdhsa_user_sgpr_kernarg_segment_ptr 1
		.amdhsa_user_sgpr_dispatch_id 0
		.amdhsa_user_sgpr_private_segment_size 0
		.amdhsa_wavefront_size32 1
		.amdhsa_uses_dynamic_stack 0
		.amdhsa_enable_private_segment 1
		.amdhsa_system_sgpr_workgroup_id_x 1
		.amdhsa_system_sgpr_workgroup_id_y 0
		.amdhsa_system_sgpr_workgroup_id_z 0
		.amdhsa_system_sgpr_workgroup_info 0
		.amdhsa_system_vgpr_workitem_id 0
		.amdhsa_next_free_vgpr 256
		.amdhsa_next_free_sgpr 54
		.amdhsa_reserve_vcc 1
		.amdhsa_float_round_mode_32 0
		.amdhsa_float_round_mode_16_64 0
		.amdhsa_float_denorm_mode_32 3
		.amdhsa_float_denorm_mode_16_64 3
		.amdhsa_fp16_overflow 0
		.amdhsa_workgroup_processor_mode 1
		.amdhsa_memory_ordered 1
		.amdhsa_forward_progress 0
		.amdhsa_round_robin_scheduling 0
		.amdhsa_exception_fp_ieee_invalid_op 0
		.amdhsa_exception_fp_denorm_src 0
		.amdhsa_exception_fp_ieee_div_zero 0
		.amdhsa_exception_fp_ieee_overflow 0
		.amdhsa_exception_fp_ieee_underflow 0
		.amdhsa_exception_fp_ieee_inexact 0
		.amdhsa_exception_int_div_zero 0
	.end_amdhsa_kernel
	.text
.Lfunc_end0:
	.size	bluestein_single_fwd_len459_dim1_dp_op_CI_CI, .Lfunc_end0-bluestein_single_fwd_len459_dim1_dp_op_CI_CI
                                        ; -- End function
	.section	.AMDGPU.csdata,"",@progbits
; Kernel info:
; codeLenInByte = 22880
; NumSgprs: 56
; NumVgprs: 256
; ScratchSize: 664
; MemoryBound: 0
; FloatMode: 240
; IeeeMode: 1
; LDSByteSize: 36720 bytes/workgroup (compile time only)
; SGPRBlocks: 6
; VGPRBlocks: 31
; NumSGPRsForWavesPerEU: 56
; NumVGPRsForWavesPerEU: 256
; Occupancy: 5
; WaveLimiterHint : 1
; COMPUTE_PGM_RSRC2:SCRATCH_EN: 1
; COMPUTE_PGM_RSRC2:USER_SGPR: 2
; COMPUTE_PGM_RSRC2:TRAP_HANDLER: 0
; COMPUTE_PGM_RSRC2:TGID_X_EN: 1
; COMPUTE_PGM_RSRC2:TGID_Y_EN: 0
; COMPUTE_PGM_RSRC2:TGID_Z_EN: 0
; COMPUTE_PGM_RSRC2:TIDIG_COMP_CNT: 0
	.text
	.p2alignl 7, 3214868480
	.fill 96, 4, 3214868480
	.type	__hip_cuid_4694fe7a9c22c36c,@object ; @__hip_cuid_4694fe7a9c22c36c
	.section	.bss,"aw",@nobits
	.globl	__hip_cuid_4694fe7a9c22c36c
__hip_cuid_4694fe7a9c22c36c:
	.byte	0                               ; 0x0
	.size	__hip_cuid_4694fe7a9c22c36c, 1

	.ident	"AMD clang version 19.0.0git (https://github.com/RadeonOpenCompute/llvm-project roc-6.4.0 25133 c7fe45cf4b819c5991fe208aaa96edf142730f1d)"
	.section	".note.GNU-stack","",@progbits
	.addrsig
	.addrsig_sym __hip_cuid_4694fe7a9c22c36c
	.amdgpu_metadata
---
amdhsa.kernels:
  - .args:
      - .actual_access:  read_only
        .address_space:  global
        .offset:         0
        .size:           8
        .value_kind:     global_buffer
      - .actual_access:  read_only
        .address_space:  global
        .offset:         8
        .size:           8
        .value_kind:     global_buffer
      - .actual_access:  read_only
        .address_space:  global
        .offset:         16
        .size:           8
        .value_kind:     global_buffer
      - .actual_access:  read_only
        .address_space:  global
        .offset:         24
        .size:           8
        .value_kind:     global_buffer
      - .actual_access:  read_only
        .address_space:  global
        .offset:         32
        .size:           8
        .value_kind:     global_buffer
      - .offset:         40
        .size:           8
        .value_kind:     by_value
      - .address_space:  global
        .offset:         48
        .size:           8
        .value_kind:     global_buffer
      - .address_space:  global
        .offset:         56
        .size:           8
        .value_kind:     global_buffer
      - .address_space:  global
        .offset:         64
        .size:           8
        .value_kind:     global_buffer
      - .address_space:  global
        .offset:         72
        .size:           8
        .value_kind:     global_buffer
      - .offset:         80
        .size:           4
        .value_kind:     by_value
      - .address_space:  global
        .offset:         88
        .size:           8
        .value_kind:     global_buffer
      - .address_space:  global
        .offset:         96
        .size:           8
        .value_kind:     global_buffer
    .group_segment_fixed_size: 36720
    .kernarg_segment_align: 8
    .kernarg_segment_size: 104
    .language:       OpenCL C
    .language_version:
      - 2
      - 0
    .max_flat_workgroup_size: 255
    .name:           bluestein_single_fwd_len459_dim1_dp_op_CI_CI
    .private_segment_fixed_size: 664
    .sgpr_count:     56
    .sgpr_spill_count: 0
    .symbol:         bluestein_single_fwd_len459_dim1_dp_op_CI_CI.kd
    .uniform_work_group_size: 1
    .uses_dynamic_stack: false
    .vgpr_count:     256
    .vgpr_spill_count: 230
    .wavefront_size: 32
    .workgroup_processor_mode: 1
amdhsa.target:   amdgcn-amd-amdhsa--gfx1201
amdhsa.version:
  - 1
  - 2
...

	.end_amdgpu_metadata
